;; amdgpu-corpus repo=ROCm/rocFFT kind=compiled arch=gfx1030 opt=O3
	.text
	.amdgcn_target "amdgcn-amd-amdhsa--gfx1030"
	.amdhsa_code_object_version 6
	.protected	bluestein_single_fwd_len3840_dim1_half_op_CI_CI ; -- Begin function bluestein_single_fwd_len3840_dim1_half_op_CI_CI
	.globl	bluestein_single_fwd_len3840_dim1_half_op_CI_CI
	.p2align	8
	.type	bluestein_single_fwd_len3840_dim1_half_op_CI_CI,@function
bluestein_single_fwd_len3840_dim1_half_op_CI_CI: ; @bluestein_single_fwd_len3840_dim1_half_op_CI_CI
; %bb.0:
	s_load_dwordx4 s[16:19], s[4:5], 0x28
	s_mov_b64 s[22:23], s[2:3]
	s_mov_b64 s[20:21], s[0:1]
	v_mov_b32_e32 v217, v0
	s_add_u32 s20, s20, s7
	s_addc_u32 s21, s21, 0
	s_mov_b32 s7, 0
	s_mov_b32 s1, exec_lo
	s_waitcnt lgkmcnt(0)
	v_cmpx_lt_u64_e64 s[6:7], s[16:17]
	s_cbranch_execz .LBB0_2
; %bb.1:
	s_clause 0x1
	s_load_dwordx4 s[8:11], s[4:5], 0x18
	s_load_dwordx4 s[0:3], s[4:5], 0x0
	v_mov_b32_e32 v22, s7
	v_mov_b32_e32 v21, s6
	v_or_b32_e32 v153, 0x300, v217
	v_lshlrev_b32_e32 v50, 2, v217
	v_or_b32_e32 v148, 0x600, v217
	v_or_b32_e32 v22, 0x380, v217
	;; [unrolled: 1-line block ×3, first 2 shown]
	v_lshlrev_b32_e32 v38, 2, v153
	v_or_b32_e32 v35, 0x2400, v50
	v_lshlrev_b32_e32 v36, 2, v148
	v_lshlrev_b32_e32 v40, 2, v22
	;; [unrolled: 1-line block ×3, first 2 shown]
	v_or_b32_e32 v31, 0x3000, v50
	v_or_b32_e32 v33, 0x2600, v50
	;; [unrolled: 1-line block ×6, first 2 shown]
	s_waitcnt lgkmcnt(0)
	s_load_dwordx4 s[12:15], s[8:9], 0x0
	s_add_u32 s6, s0, 0x3c00
	s_addc_u32 s7, s1, 0
	global_load_dword v72, v50, s[0:1]
	v_lshlrev_b32_e32 v41, 2, v168
	v_or_b32_e32 v157, 0x400, v217
	v_lshlrev_b32_e32 v73, 2, v154
	v_or_b32_e32 v167, 0x580, v217
	v_or_b32_e32 v166, 0x700, v217
	v_lshlrev_b32_e32 v34, 2, v169
	v_lshlrev_b32_e32 v37, 2, v157
	v_or_b32_e32 v76, 0x2200, v50
	v_lshlrev_b32_e32 v78, 2, v167
	v_lshlrev_b32_e32 v75, 2, v166
	v_or_b32_e32 v77, 0x2800, v50
	v_or_b32_e32 v79, 0x2e00, v50
	v_or_b32_e32 v156, 0x500, v217
	v_or_b32_e32 v88, 0x1e00, v50
	v_or_b32_e32 v81, 0x2a00, v50
	v_or_b32_e32 v80, 0x2000, v50
	s_waitcnt lgkmcnt(0)
	v_mad_u64_u32 v[1:2], null, s14, v21, 0
	v_mad_u64_u32 v[3:4], null, s12, v217, 0
	s_mul_i32 s9, s13, 0x600
	s_mul_hi_u32 s14, s12, 0x600
	s_mul_i32 s8, s12, 0x600
	s_add_i32 s9, s14, s9
	v_lshlrev_b32_e32 v87, 2, v156
	v_or_b32_e32 v84, 0x2c00, v50
	v_mad_u64_u32 v[5:6], null, s15, v21, v[2:3]
	v_or_b32_e32 v86, 0x3600, v50
	v_or_b32_e32 v82, 0x3400, v50
	v_or_b32_e32 v85, 0x3800, v50
	v_or_b32_e32 v83, 0x3a00, v50
	v_mov_b32_e32 v146, 60
	v_mul_u32_u24_e32 v170, 0x445, v168
	v_mad_u64_u32 v[6:7], null, s13, v217, v[4:5]
	v_mov_b32_e32 v2, v5
	s_mulk_i32 s13, 0xcc00
	v_mul_u32_u24_e32 v172, 0x445, v169
	s_sub_i32 s13, s13, s12
	v_mul_u32_u24_e32 v173, 0x445, v153
	v_lshlrev_b64 v[1:2], 2, v[1:2]
	v_mov_b32_e32 v4, v6
	v_mul_u32_u24_e32 v180, 0x889, v157
	v_mul_u32_u24_e32 v177, 0x889, v154
	;; [unrolled: 1-line block ×4, first 2 shown]
	v_lshlrev_b64 v[3:4], 2, v[3:4]
	v_add_co_u32 v0, vcc_lo, s18, v1
	v_add_co_ci_u32_e32 v2, vcc_lo, s19, v2, vcc_lo
	v_lshrrev_b32_e32 v163, 17, v175
	v_add_co_u32 v1, vcc_lo, v0, v3
	v_add_co_ci_u32_e32 v2, vcc_lo, v2, v4, vcc_lo
	v_mul_u32_u24_e32 v174, 0x889, v148
	v_add_co_u32 v3, vcc_lo, v1, s8
	v_add_co_ci_u32_e32 v4, vcc_lo, s9, v2, vcc_lo
	global_load_dword v0, v[1:2], off
	v_add_co_u32 v5, vcc_lo, v3, s8
	v_add_co_ci_u32_e32 v6, vcc_lo, s9, v4, vcc_lo
	v_lshrrev_b32_e32 v165, 17, v174
	v_add_co_u32 v7, vcc_lo, v5, s8
	v_add_co_ci_u32_e32 v8, vcc_lo, s9, v6, vcc_lo
	global_load_dword v19, v[5:6], off
	s_clause 0x1
	global_load_dword v69, v38, s[0:1]
	global_load_dword v71, v50, s[0:1] offset:1536
	global_load_dword v20, v[3:4], off
	v_add_co_u32 v9, vcc_lo, v7, s8
	v_add_co_ci_u32_e32 v10, vcc_lo, s9, v8, vcc_lo
	global_load_dword v68, v36, s[0:1]
	v_add_co_u32 v11, vcc_lo, v9, s8
	v_add_co_ci_u32_e32 v12, vcc_lo, s9, v10, vcc_lo
	global_load_dword v23, v[9:10], off
	global_load_dword v65, v35, s[0:1]
	v_add_co_u32 v13, vcc_lo, v11, s8
	v_add_co_ci_u32_e32 v14, vcc_lo, s9, v12, vcc_lo
	global_load_dword v62, v50, s[0:1] offset:512
	v_add_co_u32 v1, vcc_lo, v13, s8
	v_add_co_ci_u32_e32 v2, vcc_lo, s9, v14, vcc_lo
	global_load_dword v24, v[13:14], off
	v_add_co_u32 v15, vcc_lo, v1, s8
	v_add_co_ci_u32_e32 v16, vcc_lo, s9, v2, vcc_lo
	v_mul_u32_u24_e32 v171, 0x889, v151
	v_add_co_u32 v17, vcc_lo, v15, s8
	v_add_co_ci_u32_e32 v18, vcc_lo, s9, v16, vcc_lo
	v_lshrrev_b32_e32 v179, 17, v171
	v_lshrrev_b32_e32 v200, 18, v171
	v_mad_u64_u32 v[3:4], null, 0xffffcc00, s12, v[17:18]
	v_add_nc_u32_e32 v4, s13, v4
	v_add_co_u32 v5, vcc_lo, v3, s8
	v_add_co_ci_u32_e32 v6, vcc_lo, s9, v4, vcc_lo
	global_load_dword v25, v[3:4], off
	v_add_co_u32 v3, vcc_lo, v5, s8
	v_add_co_ci_u32_e32 v4, vcc_lo, s9, v6, vcc_lo
	v_add_co_u32 v9, vcc_lo, v3, s8
	v_add_co_ci_u32_e32 v10, vcc_lo, s9, v4, vcc_lo
	global_load_dword v26, v[3:4], off
	v_add_co_u32 v3, vcc_lo, v9, s8
	v_add_co_ci_u32_e32 v4, vcc_lo, s9, v10, vcc_lo
	global_load_dword v27, v[15:16], off
	s_clause 0x1
	global_load_dword v59, v40, s[0:1]
	global_load_dword v58, v39, s[0:1]
	global_load_dword v28, v[3:4], off
	v_add_co_u32 v3, vcc_lo, v3, s8
	v_add_co_ci_u32_e32 v4, vcc_lo, s9, v4, vcc_lo
	global_load_dword v63, v31, s[0:1]
	v_add_co_u32 v13, vcc_lo, v3, s8
	v_add_co_ci_u32_e32 v14, vcc_lo, s9, v4, vcc_lo
	v_add_co_u32 v15, vcc_lo, v13, s8
	v_add_co_ci_u32_e32 v16, vcc_lo, s9, v14, vcc_lo
	global_load_dword v29, v[13:14], off
	v_add_co_u32 v13, vcc_lo, v15, s8
	v_add_co_ci_u32_e32 v14, vcc_lo, s9, v16, vcc_lo
	global_load_dword v55, v33, s[0:1]
	global_load_dword v30, v[13:14], off
	global_load_dword v53, v32, s[0:1]
	v_add_co_u32 v13, vcc_lo, v13, s8
	v_add_co_ci_u32_e32 v14, vcc_lo, s9, v14, vcc_lo
	s_clause 0x1
	global_load_dword v52, v50, s[0:1] offset:1024
	global_load_dword v61, v41, s[0:1]
	global_load_dword v42, v[7:8], off
	global_load_dword v11, v[11:12], off
	;; [unrolled: 1-line block ×8, first 2 shown]
	v_mad_u64_u32 v[7:8], null, 0xffffcc00, s12, v[13:14]
	global_load_dword v13, v[13:14], off
	v_add_nc_u32_e32 v8, s13, v8
	v_add_co_u32 v1, vcc_lo, v7, s8
	v_add_co_ci_u32_e32 v2, vcc_lo, s9, v8, vcc_lo
	v_add_co_u32 v3, vcc_lo, v1, s8
	global_load_dword v7, v[7:8], off
	v_add_co_ci_u32_e32 v4, vcc_lo, s9, v2, vcc_lo
	global_load_dword v8, v[1:2], off
	v_add_co_u32 v1, vcc_lo, v3, s8
	v_add_co_ci_u32_e32 v2, vcc_lo, s9, v4, vcc_lo
	global_load_dword v14, v[3:4], off
	v_add_co_u32 v3, vcc_lo, v1, s8
	v_add_co_ci_u32_e32 v4, vcc_lo, s9, v2, vcc_lo
	global_load_dword v16, v[1:2], off
	v_add_co_u32 v1, vcc_lo, v3, s8
	v_add_co_ci_u32_e32 v2, vcc_lo, s9, v4, vcc_lo
	global_load_dword v43, v[3:4], off
	v_add_co_u32 v3, vcc_lo, v1, s8
	v_add_co_ci_u32_e32 v4, vcc_lo, s9, v2, vcc_lo
	global_load_dword v44, v[1:2], off
	v_add_co_u32 v1, vcc_lo, v3, s8
	v_add_co_ci_u32_e32 v2, vcc_lo, s9, v4, vcc_lo
	global_load_dword v45, v[3:4], off
	v_add_co_u32 v3, vcc_lo, v1, s8
	v_add_co_ci_u32_e32 v4, vcc_lo, s9, v2, vcc_lo
	global_load_dword v1, v[1:2], off
	global_load_dword v2, v[3:4], off
	s_clause 0xf
	global_load_dword v70, v73, s[0:1]
	global_load_dword v152, v75, s[0:1]
	global_load_dword v147, v76, s[0:1]
	global_load_dword v51, v34, s[0:1]
	global_load_dword v155, v78, s[0:1]
	global_load_dword v232, v79, s[0:1]
	global_load_dword v233, v77, s[0:1]
	global_load_dword v216, v37, s[0:1]
	global_load_dword v60, v87, s[0:1]
	global_load_dword v54, v85, s[0:1]
	global_load_dword v67, v88, s[0:1]
	global_load_dword v64, v86, s[0:1]
	global_load_dword v66, v81, s[0:1]
	global_load_dword v231, v82, s[0:1]
	global_load_dword v57, v80, s[0:1]
	global_load_dword v56, v84, s[0:1]
	v_add_co_u32 v5, vcc_lo, v3, s8
	v_add_co_ci_u32_e32 v6, vcc_lo, s9, v4, vcc_lo
	s_load_dwordx4 s[8:11], s[10:11], 0x0
	v_cmp_gt_u32_e32 vcc_lo, 0x78, v217
	global_load_dword v4, v[5:6], off
	s_waitcnt vmcnt(57)
	v_lshrrev_b32_e32 v46, 16, v0
	v_mul_f16_sdwa v47, v72, v0 dst_sel:DWORD dst_unused:UNUSED_PAD src0_sel:WORD_1 src1_sel:DWORD
	v_mul_f16_sdwa v3, v72, v46 dst_sel:DWORD dst_unused:UNUSED_PAD src0_sel:WORD_1 src1_sel:DWORD
	v_fma_f16 v5, v72, v46, -v47
	s_waitcnt vmcnt(56)
	v_lshrrev_b32_e32 v6, 16, v19
	s_waitcnt vmcnt(55)
	v_mul_f16_sdwa v46, v69, v19 dst_sel:DWORD dst_unused:UNUSED_PAD src0_sel:WORD_1 src1_sel:DWORD
	v_fmac_f16_e32 v3, v72, v0
	s_waitcnt vmcnt(53)
	v_lshrrev_b32_e32 v0, 16, v20
	v_mul_f16_sdwa v47, v71, v20 dst_sel:DWORD dst_unused:UNUSED_PAD src0_sel:WORD_1 src1_sel:DWORD
	v_mul_f16_sdwa v48, v69, v6 dst_sel:DWORD dst_unused:UNUSED_PAD src0_sel:WORD_1 src1_sel:DWORD
	v_fma_f16 v6, v69, v6, -v46
	v_pack_b32_f16 v3, v3, v5
	v_mul_f16_sdwa v5, v71, v0 dst_sel:DWORD dst_unused:UNUSED_PAD src0_sel:WORD_1 src1_sel:DWORD
	v_fma_f16 v0, v71, v0, -v47
	v_fmac_f16_e32 v48, v69, v19
	s_waitcnt vmcnt(51)
	v_lshrrev_b32_e32 v46, 16, v23
	v_mul_f16_sdwa v49, v68, v23 dst_sel:DWORD dst_unused:UNUSED_PAD src0_sel:WORD_1 src1_sel:DWORD
	v_fmac_f16_e32 v5, v71, v20
	v_pack_b32_f16 v6, v48, v6
	v_mul_f16_sdwa v19, v68, v46 dst_sel:DWORD dst_unused:UNUSED_PAD src0_sel:WORD_1 src1_sel:DWORD
	v_fma_f16 v20, v68, v46, -v49
	v_pack_b32_f16 v0, v5, v0
	v_fmac_f16_e32 v19, v68, v23
	s_waitcnt vmcnt(48)
	v_lshrrev_b32_e32 v46, 16, v24
	v_mul_f16_sdwa v48, v65, v24 dst_sel:DWORD dst_unused:UNUSED_PAD src0_sel:WORD_1 src1_sel:DWORD
	v_pack_b32_f16 v19, v19, v20
	v_fma_f16 v48, v65, v46, -v48
	v_mul_f16_sdwa v46, v65, v46 dst_sel:DWORD dst_unused:UNUSED_PAD src0_sel:WORD_1 src1_sel:DWORD
	v_fmac_f16_e32 v46, v65, v24
	v_pack_b32_f16 v24, v46, v48
	s_waitcnt vmcnt(47)
	v_lshrrev_b32_e32 v47, 16, v25
	v_mul_f16_sdwa v5, v62, v25 dst_sel:DWORD dst_unused:UNUSED_PAD src0_sel:WORD_1 src1_sel:DWORD
	v_mul_f16_sdwa v23, v62, v47 dst_sel:DWORD dst_unused:UNUSED_PAD src0_sel:WORD_1 src1_sel:DWORD
	v_fma_f16 v5, v62, v47, -v5
	v_fmac_f16_e32 v23, v62, v25
	s_waitcnt vmcnt(46)
	v_lshrrev_b32_e32 v20, 16, v26
	s_waitcnt vmcnt(44)
	v_mul_f16_sdwa v25, v59, v26 dst_sel:DWORD dst_unused:UNUSED_PAD src0_sel:WORD_1 src1_sel:DWORD
	v_pack_b32_f16 v5, v23, v5
	v_mul_f16_sdwa v46, v59, v20 dst_sel:DWORD dst_unused:UNUSED_PAD src0_sel:WORD_1 src1_sel:DWORD
	v_lshrrev_b32_e32 v23, 16, v27
	v_fma_f16 v20, v59, v20, -v25
	ds_write2st64_b32 v50, v3, v5 offset1:2
	s_waitcnt vmcnt(42)
	v_lshrrev_b32_e32 v3, 16, v28
	v_mul_f16_sdwa v5, v58, v28 dst_sel:DWORD dst_unused:UNUSED_PAD src0_sel:WORD_1 src1_sel:DWORD
	v_fmac_f16_e32 v46, v59, v26
	s_waitcnt vmcnt(41)
	v_mul_f16_sdwa v25, v63, v27 dst_sel:DWORD dst_unused:UNUSED_PAD src0_sel:WORD_1 src1_sel:DWORD
	v_mul_f16_sdwa v26, v58, v3 dst_sel:DWORD dst_unused:UNUSED_PAD src0_sel:WORD_1 src1_sel:DWORD
	v_fma_f16 v3, v58, v3, -v5
	v_pack_b32_f16 v20, v46, v20
	v_fma_f16 v5, v63, v23, -v25
	s_waitcnt vmcnt(40)
	v_lshrrev_b32_e32 v25, 16, v29
	v_fmac_f16_e32 v26, v58, v28
	v_mul_f16_sdwa v23, v63, v23 dst_sel:DWORD dst_unused:UNUSED_PAD src0_sel:WORD_1 src1_sel:DWORD
	ds_write2st64_b32 v50, v6, v20 offset0:12 offset1:14
	s_waitcnt vmcnt(39)
	v_mul_f16_sdwa v6, v55, v29 dst_sel:DWORD dst_unused:UNUSED_PAD src0_sel:WORD_1 src1_sel:DWORD
	v_pack_b32_f16 v3, v26, v3
	v_mul_f16_sdwa v20, v55, v25 dst_sel:DWORD dst_unused:UNUSED_PAD src0_sel:WORD_1 src1_sel:DWORD
	v_fmac_f16_e32 v23, v63, v27
	v_fma_f16 v6, v55, v25, -v6
	ds_write2st64_b32 v50, v19, v3 offset0:24 offset1:26
	s_waitcnt vmcnt(38)
	v_lshrrev_b32_e32 v3, 16, v30
	s_waitcnt vmcnt(37)
	v_mul_f16_sdwa v19, v53, v30 dst_sel:DWORD dst_unused:UNUSED_PAD src0_sel:WORD_1 src1_sel:DWORD
	v_fmac_f16_e32 v20, v55, v29
	v_pack_b32_f16 v5, v23, v5
	v_fma_f16 v19, v53, v3, -v19
	v_mul_f16_sdwa v3, v53, v3 dst_sel:DWORD dst_unused:UNUSED_PAD src0_sel:WORD_1 src1_sel:DWORD
	v_pack_b32_f16 v6, v20, v6
	s_waitcnt vmcnt(30)
	v_lshrrev_b32_e32 v20, 16, v18
	v_fmac_f16_e32 v3, v53, v30
	ds_write2st64_b32 v50, v24, v6 offset0:36 offset1:38
	v_mul_f16_sdwa v6, v61, v18 dst_sel:DWORD dst_unused:UNUSED_PAD src0_sel:WORD_1 src1_sel:DWORD
	v_mul_f16_sdwa v23, v61, v20 dst_sel:DWORD dst_unused:UNUSED_PAD src0_sel:WORD_1 src1_sel:DWORD
	v_pack_b32_f16 v3, v3, v19
	v_lshrrev_b32_e32 v19, 16, v42
	v_fma_f16 v6, v61, v20, -v6
	s_waitcnt vmcnt(25)
	v_mul_f16_sdwa v20, v52, v7 dst_sel:DWORD dst_unused:UNUSED_PAD src0_sel:WORD_1 src1_sel:DWORD
	v_fmac_f16_e32 v23, v61, v18
	ds_write2st64_b32 v50, v5, v3 offset0:48 offset1:50
	v_lshrrev_b32_e32 v3, 16, v7
	v_pack_b32_f16 v6, v23, v6
	v_mul_f16_sdwa v18, v52, v3 dst_sel:DWORD dst_unused:UNUSED_PAD src0_sel:WORD_1 src1_sel:DWORD
	v_fma_f16 v3, v52, v3, -v20
	s_waitcnt vmcnt(24)
	v_lshrrev_b32_e32 v20, 16, v8
	v_fmac_f16_e32 v18, v52, v7
	v_pack_b32_f16 v3, v18, v3
	s_waitcnt vmcnt(23)
	v_lshrrev_b32_e32 v18, 16, v14
	ds_write2st64_b32 v50, v3, v0 offset0:4 offset1:6
	s_waitcnt vmcnt(16)
	v_mul_f16_sdwa v5, v70, v42 dst_sel:DWORD dst_unused:UNUSED_PAD src0_sel:WORD_1 src1_sel:DWORD
	s_waitcnt vmcnt(13)
	v_mul_f16_sdwa v7, v51, v8 dst_sel:DWORD dst_unused:UNUSED_PAD src0_sel:WORD_1 src1_sel:DWORD
	v_mul_f16_sdwa v23, v51, v20 dst_sel:DWORD dst_unused:UNUSED_PAD src0_sel:WORD_1 src1_sel:DWORD
	v_fma_f16 v5, v70, v19, -v5
	v_mul_f16_sdwa v19, v70, v19 dst_sel:DWORD dst_unused:UNUSED_PAD src0_sel:WORD_1 src1_sel:DWORD
	s_waitcnt vmcnt(9)
	v_mul_f16_sdwa v0, v216, v14 dst_sel:DWORD dst_unused:UNUSED_PAD src0_sel:WORD_1 src1_sel:DWORD
	v_mul_f16_sdwa v3, v216, v18 dst_sel:DWORD dst_unused:UNUSED_PAD src0_sel:WORD_1 src1_sel:DWORD
	v_fma_f16 v7, v51, v20, -v7
	v_fmac_f16_e32 v23, v51, v8
	v_fmac_f16_e32 v19, v70, v42
	v_fma_f16 v0, v216, v18, -v0
	v_fmac_f16_e32 v3, v216, v14
	v_lshrrev_b32_e32 v8, 16, v11
	v_pack_b32_f16 v7, v23, v7
	v_pack_b32_f16 v5, v19, v5
	;; [unrolled: 1-line block ×3, first 2 shown]
	s_waitcnt vmcnt(6)
	v_mul_f16_sdwa v3, v67, v11 dst_sel:DWORD dst_unused:UNUSED_PAD src0_sel:WORD_1 src1_sel:DWORD
	ds_write2st64_b32 v50, v6, v7 offset0:8 offset1:10
	v_lshrrev_b32_e32 v6, 16, v9
	v_mul_f16_sdwa v7, v60, v9 dst_sel:DWORD dst_unused:UNUSED_PAD src0_sel:WORD_1 src1_sel:DWORD
	ds_write2st64_b32 v50, v0, v5 offset0:16 offset1:18
	v_lshrrev_b32_e32 v0, 16, v16
	v_mul_f16_sdwa v5, v155, v16 dst_sel:DWORD dst_unused:UNUSED_PAD src0_sel:WORD_1 src1_sel:DWORD
	v_fma_f16 v3, v67, v8, -v3
	v_fma_f16 v7, v60, v6, -v7
	v_mul_f16_sdwa v6, v60, v6 dst_sel:DWORD dst_unused:UNUSED_PAD src0_sel:WORD_1 src1_sel:DWORD
	v_mul_f16_sdwa v8, v67, v8 dst_sel:DWORD dst_unused:UNUSED_PAD src0_sel:WORD_1 src1_sel:DWORD
	v_fma_f16 v5, v155, v0, -v5
	v_mul_f16_sdwa v0, v155, v0 dst_sel:DWORD dst_unused:UNUSED_PAD src0_sel:WORD_1 src1_sel:DWORD
	v_fmac_f16_e32 v6, v60, v9
	v_fmac_f16_e32 v8, v67, v11
	s_waitcnt vmcnt(2)
	v_mul_f16_sdwa v9, v57, v10 dst_sel:DWORD dst_unused:UNUSED_PAD src0_sel:WORD_1 src1_sel:DWORD
	v_fmac_f16_e32 v0, v155, v16
	v_pack_b32_f16 v6, v6, v7
	v_mul_f16_sdwa v7, v66, v12 dst_sel:DWORD dst_unused:UNUSED_PAD src0_sel:WORD_1 src1_sel:DWORD
	v_pack_b32_f16 v3, v8, v3
	v_pack_b32_f16 v0, v0, v5
	v_lshrrev_b32_e32 v5, 16, v12
	ds_write2st64_b32 v50, v6, v0 offset0:20 offset1:22
	v_mul_f16_sdwa v0, v66, v5 dst_sel:DWORD dst_unused:UNUSED_PAD src0_sel:WORD_1 src1_sel:DWORD
	v_lshrrev_b32_e32 v6, 16, v43
	v_fma_f16 v5, v66, v5, -v7
	v_mul_f16_sdwa v7, v152, v43 dst_sel:DWORD dst_unused:UNUSED_PAD src0_sel:WORD_1 src1_sel:DWORD
	v_fmac_f16_e32 v0, v66, v12
	v_mul_f16_sdwa v8, v152, v6 dst_sel:DWORD dst_unused:UNUSED_PAD src0_sel:WORD_1 src1_sel:DWORD
	v_fma_f16 v6, v152, v6, -v7
	v_lshrrev_b32_e32 v7, 16, v10
	v_pack_b32_f16 v0, v0, v5
	v_fmac_f16_e32 v8, v152, v43
	v_lshrrev_b32_e32 v5, 16, v15
	v_fma_f16 v9, v57, v7, -v9
	v_mul_f16_sdwa v7, v57, v7 dst_sel:DWORD dst_unused:UNUSED_PAD src0_sel:WORD_1 src1_sel:DWORD
	v_pack_b32_f16 v6, v8, v6
	v_mul_f16_sdwa v8, v147, v44 dst_sel:DWORD dst_unused:UNUSED_PAD src0_sel:WORD_1 src1_sel:DWORD
	v_fmac_f16_e32 v7, v57, v10
	ds_write2st64_b32 v50, v6, v3 offset0:28 offset1:30
	v_lshrrev_b32_e32 v3, 16, v45
	v_mul_f16_sdwa v6, v233, v45 dst_sel:DWORD dst_unused:UNUSED_PAD src0_sel:WORD_1 src1_sel:DWORD
	v_lshrrev_b32_e32 v10, 16, v44
	v_pack_b32_f16 v7, v7, v9
	global_load_dword v9, v83, s[0:1]
	v_fma_f16 v6, v233, v3, -v6
	v_mul_f16_sdwa v3, v233, v3 dst_sel:DWORD dst_unused:UNUSED_PAD src0_sel:WORD_1 src1_sel:DWORD
	v_fma_f16 v8, v147, v10, -v8
	v_mul_f16_sdwa v10, v147, v10 dst_sel:DWORD dst_unused:UNUSED_PAD src0_sel:WORD_1 src1_sel:DWORD
	v_fmac_f16_e32 v3, v233, v45
	v_fmac_f16_e32 v10, v147, v44
	v_pack_b32_f16 v3, v3, v6
	s_waitcnt vmcnt(2)
	v_mul_f16_sdwa v6, v56, v15 dst_sel:DWORD dst_unused:UNUSED_PAD src0_sel:WORD_1 src1_sel:DWORD
	v_pack_b32_f16 v8, v10, v8
	ds_write2st64_b32 v50, v3, v0 offset0:40 offset1:42
	v_lshrrev_b32_e32 v0, 16, v1
	v_mul_f16_sdwa v3, v232, v1 dst_sel:DWORD dst_unused:UNUSED_PAD src0_sel:WORD_1 src1_sel:DWORD
	ds_write2st64_b32 v50, v7, v8 offset0:32 offset1:34
	v_mul_f16_sdwa v7, v56, v5 dst_sel:DWORD dst_unused:UNUSED_PAD src0_sel:WORD_1 src1_sel:DWORD
	v_fma_f16 v5, v56, v5, -v6
	v_lshrrev_b32_e32 v6, 16, v2
	v_fma_f16 v3, v232, v0, -v3
	v_mul_f16_sdwa v0, v232, v0 dst_sel:DWORD dst_unused:UNUSED_PAD src0_sel:WORD_1 src1_sel:DWORD
	v_fmac_f16_e32 v7, v56, v15
	v_fmac_f16_e32 v0, v232, v1
	v_pack_b32_f16 v1, v7, v5
	v_mul_f16_sdwa v7, v231, v2 dst_sel:DWORD dst_unused:UNUSED_PAD src0_sel:WORD_1 src1_sel:DWORD
	v_lshrrev_b32_e32 v5, 16, v17
	v_pack_b32_f16 v0, v0, v3
	v_mul_f16_sdwa v3, v64, v17 dst_sel:DWORD dst_unused:UNUSED_PAD src0_sel:WORD_1 src1_sel:DWORD
	v_fma_f16 v7, v231, v6, -v7
	v_mul_f16_sdwa v6, v231, v6 dst_sel:DWORD dst_unused:UNUSED_PAD src0_sel:WORD_1 src1_sel:DWORD
	ds_write2st64_b32 v50, v1, v0 offset0:44 offset1:46
	v_lshrrev_b32_e32 v0, 16, v13
	v_mul_f16_sdwa v1, v54, v13 dst_sel:DWORD dst_unused:UNUSED_PAD src0_sel:WORD_1 src1_sel:DWORD
	v_fmac_f16_e32 v6, v231, v2
	s_waitcnt vmcnt(1)
	v_lshrrev_b32_e32 v2, 16, v4
	v_fma_f16 v3, v64, v5, -v3
	v_mul_f16_sdwa v5, v64, v5 dst_sel:DWORD dst_unused:UNUSED_PAD src0_sel:WORD_1 src1_sel:DWORD
	v_fma_f16 v1, v54, v0, -v1
	v_mul_f16_sdwa v0, v54, v0 dst_sel:DWORD dst_unused:UNUSED_PAD src0_sel:WORD_1 src1_sel:DWORD
	v_fmac_f16_e32 v5, v64, v17
	v_fmac_f16_e32 v0, v54, v13
	v_pack_b32_f16 v3, v5, v3
	v_pack_b32_f16 v0, v0, v1
	;; [unrolled: 1-line block ×3, first 2 shown]
	s_waitcnt vmcnt(0)
	v_mul_f16_sdwa v8, v9, v4 dst_sel:DWORD dst_unused:UNUSED_PAD src0_sel:WORD_1 src1_sel:DWORD
	buffer_store_dword v9, off, s[20:23], 0 ; 4-byte Folded Spill
	v_fma_f16 v8, v9, v2, -v8
	v_mul_f16_sdwa v2, v9, v2 dst_sel:DWORD dst_unused:UNUSED_PAD src0_sel:WORD_1 src1_sel:DWORD
	v_fmac_f16_e32 v2, v9, v4
	v_pack_b32_f16 v2, v2, v8
	ds_write2st64_b32 v50, v1, v3 offset0:52 offset1:54
	ds_write2st64_b32 v50, v0, v2 offset0:56 offset1:58
	s_waitcnt lgkmcnt(0)
	s_waitcnt_vscnt null, 0x0
	s_barrier
	buffer_gl0_inv
	ds_read2st64_b32 v[1:2], v50 offset0:12 offset1:14
	ds_read2st64_b32 v[3:4], v50 offset0:24 offset1:26
	ds_read2st64_b32 v[7:8], v50 offset0:36 offset1:38
	ds_read2st64_b32 v[5:6], v50 offset0:48 offset1:50
	ds_read2st64_b32 v[11:12], v50 offset1:2
	ds_read2st64_b32 v[17:18], v50 offset0:16 offset1:18
	ds_read2st64_b32 v[19:20], v50 offset0:28 offset1:30
	;; [unrolled: 1-line block ×4, first 2 shown]
	s_waitcnt lgkmcnt(7)
	v_sub_f16_e32 v9, v3, v1
	s_waitcnt lgkmcnt(5)
	v_sub_f16_e32 v10, v7, v5
	s_waitcnt lgkmcnt(4)
	v_lshrrev_b32_e32 v42, 16, v11
	s_waitcnt lgkmcnt(1)
	v_add_f16_sdwa v27, v20, v16 dst_sel:DWORD dst_unused:UNUSED_PAD src0_sel:WORD_1 src1_sel:WORD_1
	s_waitcnt lgkmcnt(0)
	v_sub_f16_sdwa v29, v16, v14 dst_sel:DWORD dst_unused:UNUSED_PAD src0_sel:WORD_1 src1_sel:WORD_1
	v_sub_f16_sdwa v46, v3, v7 dst_sel:DWORD dst_unused:UNUSED_PAD src0_sel:WORD_1 src1_sel:WORD_1
	v_add_f16_e32 v0, v9, v10
	v_add_f16_sdwa v9, v3, v7 dst_sel:DWORD dst_unused:UNUSED_PAD src0_sel:WORD_1 src1_sel:WORD_1
	v_add_f16_sdwa v23, v42, v1 dst_sel:DWORD dst_unused:UNUSED_PAD src0_sel:DWORD src1_sel:WORD_1
	v_sub_f16_sdwa v10, v7, v5 dst_sel:DWORD dst_unused:UNUSED_PAD src0_sel:WORD_1 src1_sel:WORD_1
	v_sub_f16_sdwa v48, v1, v5 dst_sel:DWORD dst_unused:UNUSED_PAD src0_sel:WORD_1 src1_sel:WORD_1
	v_sub_f16_e32 v74, v1, v5
	v_fma_f16 v43, -0.5, v9, v42
	v_add_f16_sdwa v9, v1, v5 dst_sel:DWORD dst_unused:UNUSED_PAD src0_sel:WORD_1 src1_sel:WORD_1
	v_sub_f16_sdwa v94, v20, v16 dst_sel:DWORD dst_unused:UNUSED_PAD src0_sel:WORD_1 src1_sel:WORD_1
	v_sub_f16_sdwa v95, v18, v14 dst_sel:DWORD dst_unused:UNUSED_PAD src0_sel:WORD_1 src1_sel:WORD_1
	v_sub_f16_e32 v96, v20, v16
	v_sub_f16_e32 v97, v18, v14
	v_fmac_f16_e32 v42, -0.5, v9
	v_sub_f16_sdwa v9, v3, v1 dst_sel:DWORD dst_unused:UNUSED_PAD src0_sel:WORD_1 src1_sel:WORD_1
	v_add_f16_e32 v24, v9, v10
	v_sub_f16_e32 v9, v20, v18
	v_sub_f16_e32 v10, v16, v14
	v_add_f16_e32 v25, v9, v10
	ds_read2st64_b32 v[9:10], v50 offset0:4 offset1:6
	s_waitcnt lgkmcnt(0)
	v_lshrrev_b32_e32 v26, 16, v10
	v_fma_f16 v44, -0.5, v27, v26
	v_add_f16_sdwa v27, v18, v14 dst_sel:DWORD dst_unused:UNUSED_PAD src0_sel:WORD_1 src1_sel:WORD_1
	v_add_f16_sdwa v28, v26, v18 dst_sel:DWORD dst_unused:UNUSED_PAD src0_sel:DWORD src1_sel:WORD_1
	v_fmac_f16_e32 v26, -0.5, v27
	v_sub_f16_sdwa v27, v20, v18 dst_sel:DWORD dst_unused:UNUSED_PAD src0_sel:WORD_1 src1_sel:WORD_1
	v_add_f16_e32 v27, v27, v29
	v_add_f16_e32 v29, v1, v5
	v_fma_f16 v45, -0.5, v29, v11
	v_fmamk_f16 v47, v46, 0xbb9c, v45
	v_fmac_f16_e32 v45, 0x3b9c, v46
	v_fmac_f16_e32 v47, 0x38b4, v48
	;; [unrolled: 1-line block ×5, first 2 shown]
	v_sub_f16_e32 v0, v3, v7
	v_fmamk_f16 v49, v0, 0x3b9c, v42
	v_fmac_f16_e32 v42, 0xbb9c, v0
	v_fmac_f16_e32 v49, 0xb8b4, v74
	v_fmac_f16_e32 v42, 0x38b4, v74
	v_fmac_f16_e32 v49, 0x34f2, v24
	v_fmac_f16_e32 v42, 0x34f2, v24
	v_add_f16_e32 v24, v18, v14
	v_fma_f16 v24, -0.5, v24, v10
	v_fmamk_f16 v29, v94, 0xbb9c, v24
	v_fmac_f16_e32 v24, 0x3b9c, v94
	v_fmac_f16_e32 v29, 0x38b4, v95
	;; [unrolled: 1-line block ×5, first 2 shown]
	v_fmamk_f16 v25, v96, 0x3b9c, v26
	v_fmac_f16_e32 v26, 0xbb9c, v96
	v_mul_f16_e32 v101, 0xbb9c, v29
	v_mul_f16_e32 v98, 0xb4f2, v24
	v_fmac_f16_e32 v25, 0xb8b4, v97
	v_fmac_f16_e32 v26, 0x38b4, v97
	;; [unrolled: 1-line block ×4, first 2 shown]
	v_mul_f16_e32 v100, 0x3b9c, v25
	v_mul_f16_e32 v99, 0xb4f2, v26
	v_fmac_f16_e32 v98, 0x3b9c, v26
	v_fmac_f16_e32 v101, 0x34f2, v25
	;; [unrolled: 1-line block ×4, first 2 shown]
	v_add_f16_e32 v24, v45, v98
	v_add_f16_e32 v25, v42, v99
	v_pack_b32_f16 v91, v24, v25
	v_add_f16_e32 v24, v47, v100
	v_add_f16_e32 v25, v49, v101
	v_pack_b32_f16 v90, v24, v25
	v_sub_f16_e32 v24, v1, v3
	v_sub_f16_e32 v25, v5, v7
	v_add_f16_e32 v102, v24, v25
	v_sub_f16_sdwa v24, v1, v3 dst_sel:DWORD dst_unused:UNUSED_PAD src0_sel:WORD_1 src1_sel:WORD_1
	v_sub_f16_sdwa v25, v5, v7 dst_sel:DWORD dst_unused:UNUSED_PAD src0_sel:WORD_1 src1_sel:WORD_1
	v_add_f16_e32 v1, v11, v1
	v_add_f16_e32 v103, v24, v25
	v_sub_f16_e32 v24, v18, v20
	v_sub_f16_e32 v25, v14, v16
	v_add_f16_e32 v1, v1, v3
	v_add_f16_e32 v104, v24, v25
	v_sub_f16_sdwa v24, v18, v20 dst_sel:DWORD dst_unused:UNUSED_PAD src0_sel:WORD_1 src1_sel:WORD_1
	v_sub_f16_sdwa v25, v14, v16 dst_sel:DWORD dst_unused:UNUSED_PAD src0_sel:WORD_1 src1_sel:WORD_1
	v_add_f16_e32 v1, v1, v7
	v_add_f16_e32 v105, v24, v25
	;; [unrolled: 1-line block ×3, first 2 shown]
	v_fmamk_f16 v25, v97, 0xbb9c, v44
	v_add_f16_e32 v1, v1, v5
	v_fmac_f16_e32 v44, 0x3b9c, v97
	v_fma_f16 v106, -0.5, v24, v10
	v_add_f16_e32 v10, v10, v18
	v_add_f16_sdwa v18, v23, v3 dst_sel:DWORD dst_unused:UNUSED_PAD src0_sel:DWORD src1_sel:WORD_1
	v_add_f16_e32 v3, v3, v7
	v_fmac_f16_e32 v25, 0xb8b4, v96
	v_fmamk_f16 v24, v95, 0x3b9c, v106
	v_add_f16_e32 v10, v10, v20
	v_add_f16_sdwa v20, v28, v20 dst_sel:DWORD dst_unused:UNUSED_PAD src0_sel:DWORD src1_sel:WORD_1
	v_fma_f16 v3, -0.5, v3, v11
	v_add_f16_sdwa v7, v18, v7 dst_sel:DWORD dst_unused:UNUSED_PAD src0_sel:DWORD src1_sel:WORD_1
	v_fmac_f16_e32 v24, 0x38b4, v94
	v_add_f16_e32 v10, v10, v16
	v_add_f16_sdwa v11, v20, v16 dst_sel:DWORD dst_unused:UNUSED_PAD src0_sel:DWORD src1_sel:WORD_1
	v_fmamk_f16 v18, v48, 0x3b9c, v3
	v_fmamk_f16 v20, v74, 0xbb9c, v43
	v_fmac_f16_e32 v24, 0x34f2, v104
	v_fmac_f16_e32 v25, 0x34f2, v105
	v_add_f16_e32 v16, v10, v14
	v_fmac_f16_e32 v18, 0x38b4, v46
	v_fmac_f16_e32 v20, 0xb8b4, v0
	v_mul_f16_e32 v107, 0x3a79, v24
	v_mul_f16_e32 v108, 0xb8b4, v24
	v_add_f16_sdwa v5, v7, v5 dst_sel:DWORD dst_unused:UNUSED_PAD src0_sel:DWORD src1_sel:WORD_1
	v_add_f16_sdwa v7, v11, v14 dst_sel:DWORD dst_unused:UNUSED_PAD src0_sel:DWORD src1_sel:WORD_1
	v_fmac_f16_e32 v106, 0xbb9c, v95
	v_fmac_f16_e32 v107, 0x38b4, v25
	;; [unrolled: 1-line block ×5, first 2 shown]
	v_add_f16_e32 v10, v1, v16
	v_add_f16_e32 v11, v5, v7
	v_fmac_f16_e32 v106, 0xb8b4, v94
	v_fmac_f16_e32 v44, 0x38b4, v96
	;; [unrolled: 1-line block ×4, first 2 shown]
	v_pack_b32_f16 v92, v10, v11
	v_add_f16_e32 v10, v18, v107
	v_add_f16_e32 v11, v20, v108
	v_fmac_f16_e32 v106, 0x34f2, v104
	v_fmac_f16_e32 v44, 0x34f2, v105
	;; [unrolled: 1-line block ×4, first 2 shown]
	v_pack_b32_f16 v93, v10, v11
	v_mul_u32_u24_e32 v10, 10, v217
	v_sub_f16_e32 v0, v1, v16
	v_sub_f16_e32 v1, v5, v7
	v_mul_f16_e32 v5, 0xba79, v106
	v_mul_f16_e32 v7, 0xba79, v44
	v_lshlrev_b32_e32 v89, 2, v10
	v_sub_f16_e32 v14, v18, v107
	v_sub_f16_e32 v20, v20, v108
	v_fmac_f16_e32 v3, 0x34f2, v102
	v_fmac_f16_e32 v43, 0x34f2, v103
	;; [unrolled: 1-line block ×4, first 2 shown]
	ds_read2st64_b32 v[10:11], v50 offset0:8 offset1:10
	ds_read2st64_b32 v[27:28], v50 offset0:20 offset1:22
	;; [unrolled: 1-line block ×5, first 2 shown]
	s_waitcnt lgkmcnt(0)
	s_barrier
	buffer_gl0_inv
	ds_write2_b64 v89, v[92:93], v[90:91] offset1:1
	v_pack_b32_f16 v90, v14, v20
	v_pack_b32_f16 v93, v0, v1
	v_add_f16_e32 v0, v3, v5
	v_add_f16_e32 v1, v43, v7
	v_lshrrev_b32_e32 v14, 16, v12
	v_sub_f16_e32 v18, v47, v100
	v_sub_f16_e32 v47, v49, v101
	v_add_f16_e32 v16, v4, v8
	v_pack_b32_f16 v92, v0, v1
	v_add_f16_sdwa v1, v14, v2 dst_sel:DWORD dst_unused:UNUSED_PAD src0_sel:DWORD src1_sel:WORD_1
	v_add_f16_e32 v0, v12, v2
	v_pack_b32_f16 v91, v18, v47
	v_sub_f16_sdwa v18, v4, v8 dst_sel:DWORD dst_unused:UNUSED_PAD src0_sel:WORD_1 src1_sel:WORD_1
	v_sub_f16_e32 v20, v2, v4
	v_add_f16_sdwa v1, v1, v4 dst_sel:DWORD dst_unused:UNUSED_PAD src0_sel:DWORD src1_sel:WORD_1
	v_add_f16_e32 v0, v0, v4
	ds_write2_b64 v89, v[92:93], v[90:91] offset0:2 offset1:3
	v_sub_f16_e32 v44, v4, v2
	v_add_f16_sdwa v46, v4, v8 dst_sel:DWORD dst_unused:UNUSED_PAD src0_sel:WORD_1 src1_sel:WORD_1
	v_add_f16_sdwa v1, v1, v8 dst_sel:DWORD dst_unused:UNUSED_PAD src0_sel:DWORD src1_sel:WORD_1
	v_sub_f16_e32 v47, v4, v8
	v_sub_f16_sdwa v48, v2, v4 dst_sel:DWORD dst_unused:UNUSED_PAD src0_sel:WORD_1 src1_sel:WORD_1
	v_sub_f16_sdwa v4, v4, v2 dst_sel:DWORD dst_unused:UNUSED_PAD src0_sel:WORD_1 src1_sel:WORD_1
	;; [unrolled: 1-line block ×3, first 2 shown]
	v_add_f16_e32 v74, v2, v6
	v_sub_f16_e32 v91, v2, v6
	v_add_f16_sdwa v90, v2, v6 dst_sel:DWORD dst_unused:UNUSED_PAD src0_sel:WORD_1 src1_sel:WORD_1
	v_add_f16_e32 v0, v0, v8
	v_add_f16_sdwa v95, v1, v6 dst_sel:DWORD dst_unused:UNUSED_PAD src0_sel:DWORD src1_sel:WORD_1
	v_sub_f16_e32 v1, v45, v98
	v_sub_f16_e32 v2, v3, v5
	;; [unrolled: 1-line block ×5, first 2 shown]
	v_sub_f16_sdwa v94, v6, v8 dst_sel:DWORD dst_unused:UNUSED_PAD src0_sel:WORD_1 src1_sel:WORD_1
	v_sub_f16_sdwa v8, v8, v6 dst_sel:DWORD dst_unused:UNUSED_PAD src0_sel:WORD_1 src1_sel:WORD_1
	v_add_f16_e32 v0, v0, v6
	v_pack_b32_f16 v1, v1, v5
	v_sub_f16_e32 v5, v29, v27
	v_sub_f16_e32 v6, v25, v23
	;; [unrolled: 1-line block ×3, first 2 shown]
	v_fma_f16 v7, -0.5, v16, v12
	v_fmac_f16_e32 v12, -0.5, v74
	v_add_f16_sdwa v16, v29, v25 dst_sel:DWORD dst_unused:UNUSED_PAD src0_sel:WORD_1 src1_sel:WORD_1
	v_add_f16_e32 v5, v5, v6
	v_lshrrev_b32_e32 v6, 16, v10
	v_add_f16_sdwa v42, v27, v23 dst_sel:DWORD dst_unused:UNUSED_PAD src0_sel:WORD_1 src1_sel:WORD_1
	v_pack_b32_f16 v2, v2, v3
	v_add_f16_e32 v3, v44, v93
	v_sub_f16_sdwa v44, v25, v23 dst_sel:DWORD dst_unused:UNUSED_PAD src0_sel:WORD_1 src1_sel:WORD_1
	v_fma_f16 v16, -0.5, v16, v6
	v_add_f16_sdwa v43, v6, v27 dst_sel:DWORD dst_unused:UNUSED_PAD src0_sel:DWORD src1_sel:WORD_1
	v_fmac_f16_e32 v6, -0.5, v42
	v_sub_f16_sdwa v42, v29, v27 dst_sel:DWORD dst_unused:UNUSED_PAD src0_sel:WORD_1 src1_sel:WORD_1
	v_add_f16_e32 v4, v4, v8
	v_fmamk_f16 v8, v18, 0xbb9c, v12
	v_fmac_f16_e32 v12, 0x3b9c, v18
	v_sub_f16_sdwa v74, v27, v23 dst_sel:DWORD dst_unused:UNUSED_PAD src0_sel:WORD_1 src1_sel:WORD_1
	v_add_f16_e32 v42, v42, v44
	v_fma_f16 v44, -0.5, v46, v14
	v_fmac_f16_e32 v14, -0.5, v90
	v_fmac_f16_e32 v12, 0xb8b4, v49
	v_fmac_f16_e32 v8, 0x38b4, v49
	v_sub_f16_sdwa v46, v29, v25 dst_sel:DWORD dst_unused:UNUSED_PAD src0_sel:WORD_1 src1_sel:WORD_1
	v_sub_f16_e32 v93, v29, v25
	v_fmamk_f16 v45, v47, 0x3b9c, v14
	v_fmac_f16_e32 v12, 0x34f2, v3
	v_fmac_f16_e32 v8, 0x34f2, v3
	;; [unrolled: 1-line block ×3, first 2 shown]
	v_add_f16_e32 v3, v27, v23
	v_fmac_f16_e32 v45, 0xb8b4, v91
	v_sub_f16_e32 v96, v27, v23
	v_add_f16_e32 v20, v20, v92
	v_fmac_f16_e32 v14, 0x38b4, v91
	v_fma_f16 v3, -0.5, v3, v10
	v_fmac_f16_e32 v45, 0x34f2, v4
	v_add_f16_e32 v48, v48, v94
	ds_write_b64 v89, v[1:2] offset:32
	v_fmac_f16_e32 v14, 0x34f2, v4
	v_fmamk_f16 v4, v46, 0xbb9c, v3
	v_fmac_f16_e32 v3, 0x3b9c, v46
	v_fmac_f16_e32 v4, 0x38b4, v74
	;; [unrolled: 1-line block ×5, first 2 shown]
	v_fmamk_f16 v5, v93, 0x3b9c, v6
	v_fmac_f16_e32 v6, 0xbb9c, v93
	v_mul_f16_e32 v99, 0xbb9c, v4
	v_fmac_f16_e32 v5, 0xb8b4, v96
	v_fmac_f16_e32 v6, 0x38b4, v96
	;; [unrolled: 1-line block ×4, first 2 shown]
	v_mul_f16_e32 v42, 0xb4f2, v3
	v_mul_f16_e32 v98, 0x3b9c, v5
	;; [unrolled: 1-line block ×3, first 2 shown]
	v_fmac_f16_e32 v42, 0x3b9c, v6
	v_fmac_f16_e32 v99, 0x34f2, v5
	v_sub_f16_e32 v6, v23, v25
	v_fmac_f16_e32 v98, 0x34f2, v4
	v_fmac_f16_e32 v97, 0xbb9c, v3
	v_add_f16_e32 v3, v12, v42
	v_add_f16_e32 v5, v45, v99
	v_sub_f16_e32 v2, v8, v98
	v_add_f16_e32 v4, v14, v97
	v_pack_b32_f16 v4, v3, v4
	v_add_f16_e32 v3, v8, v98
	v_sub_f16_sdwa v98, v28, v24 dst_sel:DWORD dst_unused:UNUSED_PAD src0_sel:WORD_1 src1_sel:WORD_1
	v_pack_b32_f16 v3, v3, v5
	v_sub_f16_e32 v5, v27, v29
	v_add_f16_e32 v92, v5, v6
	v_sub_f16_sdwa v5, v27, v29 dst_sel:DWORD dst_unused:UNUSED_PAD src0_sel:WORD_1 src1_sel:WORD_1
	v_sub_f16_sdwa v6, v23, v25 dst_sel:DWORD dst_unused:UNUSED_PAD src0_sel:WORD_1 src1_sel:WORD_1
	v_add_f16_e32 v94, v5, v6
	v_add_f16_e32 v5, v29, v25
	v_fmamk_f16 v6, v96, 0xbb9c, v16
	v_fmac_f16_e32 v16, 0x3b9c, v96
	v_add_f16_e32 v96, v28, v24
	v_fma_f16 v100, -0.5, v5, v10
	v_fmac_f16_e32 v6, 0xb8b4, v93
	v_fmac_f16_e32 v16, 0x38b4, v93
	v_add_f16_sdwa v93, v30, v26 dst_sel:DWORD dst_unused:UNUSED_PAD src0_sel:WORD_1 src1_sel:WORD_1
	v_fmamk_f16 v5, v74, 0x3b9c, v100
	v_fmac_f16_e32 v6, 0x34f2, v94
	v_fmac_f16_e32 v100, 0xbb9c, v74
	;; [unrolled: 1-line block ×3, first 2 shown]
	v_sub_f16_sdwa v74, v30, v26 dst_sel:DWORD dst_unused:UNUSED_PAD src0_sel:WORD_1 src1_sel:WORD_1
	v_fmac_f16_e32 v5, 0x38b4, v46
	v_sub_f16_e32 v94, v30, v26
	v_fmac_f16_e32 v100, 0xb8b4, v46
	v_sub_f16_e32 v46, v15, v13
	v_fmac_f16_e32 v5, 0x34f2, v92
	v_fmac_f16_e32 v100, 0x34f2, v92
	v_sub_f16_e32 v92, v30, v28
	v_mul_f16_e32 v101, 0x3a79, v5
	v_mul_f16_e32 v102, 0xb8b4, v5
	v_add_f16_e32 v5, v10, v27
	v_fmamk_f16 v10, v49, 0x3b9c, v7
	v_fmamk_f16 v27, v91, 0xbb9c, v44
	v_fmac_f16_e32 v101, 0x38b4, v6
	v_fmac_f16_e32 v102, 0x3a79, v6
	v_add_f16_e32 v5, v5, v29
	v_add_f16_sdwa v6, v43, v29 dst_sel:DWORD dst_unused:UNUSED_PAD src0_sel:DWORD src1_sel:WORD_1
	v_fmac_f16_e32 v10, 0x38b4, v18
	v_fmac_f16_e32 v27, 0xb8b4, v47
	;; [unrolled: 1-line block ×3, first 2 shown]
	v_add_f16_e32 v5, v5, v25
	v_add_f16_sdwa v6, v6, v25 dst_sel:DWORD dst_unused:UNUSED_PAD src0_sel:DWORD src1_sel:WORD_1
	v_fmac_f16_e32 v10, 0x34f2, v20
	v_fmac_f16_e32 v27, 0x34f2, v48
	;; [unrolled: 1-line block ×3, first 2 shown]
	v_add_f16_e32 v25, v5, v23
	v_add_f16_sdwa v29, v6, v23 dst_sel:DWORD dst_unused:UNUSED_PAD src0_sel:DWORD src1_sel:WORD_1
	v_add_f16_e32 v5, v10, v101
	v_add_f16_e32 v6, v27, v102
	v_fmac_f16_e32 v7, 0xb8b4, v18
	v_fmac_f16_e32 v44, 0x38b4, v47
	v_add_f16_e32 v23, v95, v29
	v_add_f16_sdwa v18, v19, v15 dst_sel:DWORD dst_unused:UNUSED_PAD src0_sel:WORD_1 src1_sel:WORD_1
	v_pack_b32_f16 v6, v5, v6
	v_add_f16_e32 v5, v0, v25
	v_fmac_f16_e32 v7, 0x34f2, v20
	v_fmac_f16_e32 v44, 0x34f2, v48
	v_sub_f16_e32 v0, v0, v25
	v_lshrrev_b32_e32 v48, 16, v11
	v_pack_b32_f16 v5, v5, v23
	v_or_b32_e32 v23, 0x80, v217
	v_sub_f16_e32 v20, v19, v15
	v_sub_f16_sdwa v25, v17, v19 dst_sel:DWORD dst_unused:UNUSED_PAD src0_sel:WORD_1 src1_sel:WORD_1
	v_sub_f16_e32 v43, v17, v13
	v_sub_f16_sdwa v47, v13, v15 dst_sel:DWORD dst_unused:UNUSED_PAD src0_sel:WORD_1 src1_sel:WORD_1
	v_mul_u32_u24_e32 v1, 10, v23
	v_add_f16_e32 v49, v30, v26
	v_sub_f16_e32 v91, v28, v30
	v_lshlrev_b32_e32 v90, 2, v1
	v_sub_f16_e32 v1, v10, v101
	v_sub_f16_sdwa v10, v19, v15 dst_sel:DWORD dst_unused:UNUSED_PAD src0_sel:WORD_1 src1_sel:WORD_1
	v_sub_f16_e32 v101, v26, v24
	ds_write2_b64 v90, v[5:6], v[3:4] offset1:1
	v_mul_f16_e32 v5, 0xba79, v100
	v_mul_f16_e32 v6, 0xba79, v16
	v_sub_f16_e32 v3, v27, v102
	v_sub_f16_e32 v4, v45, v99
	v_sub_f16_sdwa v27, v17, v13 dst_sel:DWORD dst_unused:UNUSED_PAD src0_sel:WORD_1 src1_sel:WORD_1
	v_fmac_f16_e32 v5, 0x38b4, v16
	v_fmac_f16_e32 v6, 0xb8b4, v100
	v_pack_b32_f16 v1, v1, v3
	v_pack_b32_f16 v2, v2, v4
	v_sub_f16_e32 v4, v95, v29
	v_add_f16_e32 v3, v7, v5
	v_add_f16_e32 v8, v44, v6
	v_sub_f16_e32 v16, v17, v19
	v_add_f16_e32 v29, v17, v13
	v_pack_b32_f16 v4, v0, v4
	v_add_f16_e32 v0, v9, v17
	v_pack_b32_f16 v3, v3, v8
	v_lshrrev_b32_e32 v8, 16, v9
	v_sub_f16_e32 v45, v13, v15
	v_sub_f16_sdwa v95, v28, v30 dst_sel:DWORD dst_unused:UNUSED_PAD src0_sel:WORD_1 src1_sel:WORD_1
	v_add_f16_e32 v0, v0, v19
	ds_write2_b64 v90, v[3:4], v[1:2] offset0:2 offset1:3
	v_add_f16_sdwa v1, v8, v17 dst_sel:DWORD dst_unused:UNUSED_PAD src0_sel:DWORD src1_sel:WORD_1
	v_add_f16_e32 v3, v19, v15
	v_sub_f16_e32 v4, v19, v17
	v_add_f16_e32 v0, v0, v15
	v_add_f16_sdwa v2, v48, v28 dst_sel:DWORD dst_unused:UNUSED_PAD src0_sel:DWORD src1_sel:WORD_1
	v_add_f16_sdwa v1, v1, v19 dst_sel:DWORD dst_unused:UNUSED_PAD src0_sel:DWORD src1_sel:WORD_1
	v_sub_f16_sdwa v19, v19, v17 dst_sel:DWORD dst_unused:UNUSED_PAD src0_sel:WORD_1 src1_sel:WORD_1
	v_add_f16_sdwa v17, v17, v13 dst_sel:DWORD dst_unused:UNUSED_PAD src0_sel:WORD_1 src1_sel:WORD_1
	v_add_f16_e32 v0, v0, v13
	v_add_f16_sdwa v2, v2, v30 dst_sel:DWORD dst_unused:UNUSED_PAD src0_sel:DWORD src1_sel:WORD_1
	v_add_f16_sdwa v1, v1, v15 dst_sel:DWORD dst_unused:UNUSED_PAD src0_sel:DWORD src1_sel:WORD_1
	v_sub_f16_sdwa v15, v15, v13 dst_sel:DWORD dst_unused:UNUSED_PAD src0_sel:WORD_1 src1_sel:WORD_1
	v_sub_f16_e32 v99, v28, v24
	v_sub_f16_e32 v100, v24, v26
	v_add_f16_sdwa v2, v2, v26 dst_sel:DWORD dst_unused:UNUSED_PAD src0_sel:DWORD src1_sel:WORD_1
	v_add_f16_sdwa v13, v1, v13 dst_sel:DWORD dst_unused:UNUSED_PAD src0_sel:DWORD src1_sel:WORD_1
	v_add_f16_e32 v1, v11, v28
	v_sub_f16_sdwa v102, v24, v26 dst_sel:DWORD dst_unused:UNUSED_PAD src0_sel:WORD_1 src1_sel:WORD_1
	v_fma_f16 v18, -0.5, v18, v8
	v_fmac_f16_e32 v8, -0.5, v17
	v_add_f16_e32 v1, v1, v30
	v_sub_f16_sdwa v30, v30, v28 dst_sel:DWORD dst_unused:UNUSED_PAD src0_sel:WORD_1 src1_sel:WORD_1
	v_add_f16_sdwa v28, v28, v24 dst_sel:DWORD dst_unused:UNUSED_PAD src0_sel:WORD_1 src1_sel:WORD_1
	v_fmamk_f16 v17, v20, 0x3b9c, v8
	v_fmac_f16_e32 v8, 0xbb9c, v20
	v_add_f16_e32 v1, v1, v26
	v_sub_f16_sdwa v26, v26, v24 dst_sel:DWORD dst_unused:UNUSED_PAD src0_sel:WORD_1 src1_sel:WORD_1
	v_fmac_f16_e32 v17, 0xb8b4, v43
	v_fmac_f16_e32 v8, 0x38b4, v43
	v_add_f16_e32 v103, v1, v24
	v_add_f16_sdwa v24, v2, v24 dst_sel:DWORD dst_unused:UNUSED_PAD src0_sel:DWORD src1_sel:WORD_1
	v_sub_f16_e32 v2, v7, v5
	v_fma_f16 v7, -0.5, v93, v48
	v_fmac_f16_e32 v48, -0.5, v28
	v_sub_f16_e32 v1, v12, v42
	v_sub_f16_e32 v5, v44, v6
	v_sub_f16_e32 v6, v14, v97
	v_fma_f16 v12, -0.5, v49, v11
	v_fmac_f16_e32 v11, -0.5, v96
	v_fmamk_f16 v14, v94, 0x3b9c, v48
	v_fmac_f16_e32 v48, 0xbb9c, v94
	v_pack_b32_f16 v1, v1, v6
	v_add_f16_e32 v6, v30, v26
	v_fmamk_f16 v26, v74, 0xbb9c, v11
	v_fmac_f16_e32 v11, 0x3b9c, v74
	v_fmac_f16_e32 v48, 0x38b4, v99
	v_pack_b32_f16 v2, v2, v5
	v_add_f16_e32 v5, v92, v101
	v_fma_f16 v42, -0.5, v3, v9
	v_fmac_f16_e32 v11, 0xb8b4, v98
	v_fmac_f16_e32 v48, 0x34f2, v6
	v_fmac_f16_e32 v9, -0.5, v29
	v_fmac_f16_e32 v14, 0xb8b4, v99
	v_add_f16_e32 v3, v4, v46
	v_fmac_f16_e32 v11, 0x34f2, v5
	v_mul_f16_e32 v28, 0xb4f2, v48
	v_add_f16_e32 v4, v19, v15
	v_fmamk_f16 v15, v10, 0xbb9c, v9
	v_fmac_f16_e32 v9, 0x3b9c, v10
	v_fmac_f16_e32 v14, 0x34f2, v6
	;; [unrolled: 1-line block ×4, first 2 shown]
	v_mul_f16_e32 v11, 0xb4f2, v11
	v_fmac_f16_e32 v9, 0xb8b4, v27
	v_mul_f16_e32 v19, 0x3b9c, v14
	v_fmac_f16_e32 v26, 0x34f2, v5
	v_fmac_f16_e32 v15, 0x38b4, v27
	;; [unrolled: 1-line block ×6, first 2 shown]
	v_mul_f16_e32 v26, 0xbb9c, v26
	v_fmac_f16_e32 v15, 0x34f2, v3
	v_fmac_f16_e32 v17, 0x34f2, v4
	v_add_f16_e32 v3, v9, v11
	v_add_f16_e32 v4, v8, v28
	v_fmac_f16_e32 v26, 0x34f2, v14
	v_add_f16_e32 v14, v16, v45
	v_add_f16_e32 v16, v25, v47
	;; [unrolled: 1-line block ×3, first 2 shown]
	v_pack_b32_f16 v4, v3, v4
	v_add_f16_e32 v3, v15, v19
	v_add_f16_e32 v5, v17, v26
	v_fmamk_f16 v6, v99, 0xbb9c, v7
	v_add_f16_e32 v29, v95, v102
	v_fmamk_f16 v46, v27, 0x3b9c, v42
	v_fmamk_f16 v47, v43, 0xbb9c, v18
	v_pack_b32_f16 v3, v3, v5
	v_fmamk_f16 v5, v98, 0x3b9c, v12
	v_fmac_f16_e32 v6, 0xb8b4, v94
	v_fmac_f16_e32 v46, 0x38b4, v10
	;; [unrolled: 1-line block ×3, first 2 shown]
	v_add_f16_e32 v30, v13, v24
	v_fmac_f16_e32 v5, 0x38b4, v74
	v_fmac_f16_e32 v6, 0x34f2, v29
	;; [unrolled: 1-line block ×7, first 2 shown]
	ds_write_b64 v90, v[1:2] offset:32
	v_fmac_f16_e32 v42, 0xbb9c, v27
	v_fmac_f16_e32 v12, 0xb8b4, v74
	v_mul_f16_e32 v44, 0x3a79, v5
	v_mul_f16_e32 v45, 0xb8b4, v5
	v_fmac_f16_e32 v7, 0x38b4, v94
	v_fmac_f16_e32 v18, 0x3b9c, v43
	;; [unrolled: 1-line block ×8, first 2 shown]
	v_add_f16_e32 v5, v46, v44
	v_add_f16_e32 v6, v47, v45
	v_sub_f16_e32 v2, v15, v19
	v_fmac_f16_e32 v42, 0x34f2, v14
	v_fmac_f16_e32 v18, 0x34f2, v16
	v_pack_b32_f16 v6, v5, v6
	v_add_f16_e32 v5, v0, v103
	v_sub_f16_e32 v0, v0, v103
	v_pack_b32_f16 v5, v5, v30
	v_or_b32_e32 v30, 0x100, v217
	v_mul_u32_u24_e32 v1, 10, v30
	v_lshlrev_b32_e32 v96, 2, v1
	v_sub_f16_e32 v1, v46, v44
	ds_write2_b64 v96, v[5:6], v[3:4] offset1:1
	v_mul_f16_e32 v5, 0xba79, v12
	v_mul_f16_e32 v6, 0xba79, v7
	v_sub_f16_e32 v3, v47, v45
	v_sub_f16_e32 v4, v17, v26
	v_fmac_f16_e32 v5, 0x38b4, v7
	v_fmac_f16_e32 v6, 0xb8b4, v12
	v_pack_b32_f16 v1, v1, v3
	v_pack_b32_f16 v2, v2, v4
	v_sub_f16_e32 v4, v13, v24
	v_add_f16_e32 v3, v42, v5
	v_add_f16_e32 v7, v18, v6
	v_pack_b32_f16 v4, v0, v4
	v_sub_f16_e32 v0, v9, v11
	v_pack_b32_f16 v3, v3, v7
	ds_write2_b64 v96, v[3:4], v[1:2] offset0:2 offset1:3
	v_sub_f16_e32 v1, v42, v5
	v_sub_f16_e32 v2, v18, v6
	;; [unrolled: 1-line block ×3, first 2 shown]
	v_pack_b32_f16 v2, v1, v2
	v_pack_b32_f16 v1, v0, v3
	v_mul_u32_u24_e32 v0, 0x199a, v168
	ds_write_b64 v96, v[1:2] offset:32
	v_lshrrev_b32_e32 v99, 16, v0
	s_waitcnt lgkmcnt(0)
	s_barrier
	buffer_gl0_inv
	ds_read2st64_b32 v[24:25], v50 offset0:36 offset1:38
	v_mul_lo_u16 v0, v99, 10
	v_sub_nc_u16 v100, v168, v0
	v_mul_lo_u16 v0, v100, 20
	v_and_b32_e32 v0, 0xffff, v0
	v_add_co_u32 v1, s0, s2, v0
	v_add_co_ci_u32_e64 v2, null, s3, 0, s0
	s_clause 0x1
	global_load_dword v74, v[1:2], off offset:16
	global_load_dwordx4 v[226:229], v[1:2], off
	ds_read2st64_b32 v[26:27], v50 offset0:56 offset1:58
	ds_read2st64_b32 v[28:29], v50 offset0:16 offset1:18
	s_waitcnt lgkmcnt(2)
	v_lshrrev_b32_e32 v0, 16, v25
	ds_read2st64_b32 v[8:9], v50 offset0:28 offset1:30
	ds_read2st64_b32 v[10:11], v50 offset0:48 offset1:50
	ds_read2st64_b32 v[12:13], v50 offset0:8 offset1:10
	s_waitcnt lgkmcnt(4)
	v_lshrrev_b32_e32 v2, 16, v27
	s_waitcnt lgkmcnt(3)
	v_lshrrev_b32_e32 v3, 16, v29
	;; [unrolled: 2-line block ×4, first 2 shown]
	s_waitcnt vmcnt(1)
	v_mul_f16_sdwa v102, v27, v74 dst_sel:DWORD dst_unused:UNUSED_PAD src0_sel:DWORD src1_sel:WORD_1
	s_waitcnt vmcnt(0)
	v_mul_f16_sdwa v1, v25, v228 dst_sel:DWORD dst_unused:UNUSED_PAD src0_sel:DWORD src1_sel:WORD_1
	v_mul_f16_sdwa v101, v29, v226 dst_sel:DWORD dst_unused:UNUSED_PAD src0_sel:DWORD src1_sel:WORD_1
	;; [unrolled: 1-line block ×4, first 2 shown]
	v_fmac_f16_e32 v102, v2, v74
	v_fmac_f16_e32 v1, v0, v228
	v_mul_f16_sdwa v0, v0, v228 dst_sel:DWORD dst_unused:UNUSED_PAD src0_sel:DWORD src1_sel:WORD_1
	v_mul_f16_sdwa v2, v2, v74 dst_sel:DWORD dst_unused:UNUSED_PAD src0_sel:DWORD src1_sel:WORD_1
	v_fmac_f16_e32 v101, v3, v226
	v_mul_f16_sdwa v3, v3, v226 dst_sel:DWORD dst_unused:UNUSED_PAD src0_sel:DWORD src1_sel:WORD_1
	v_fma_f16 v0, v25, v228, -v0
	v_fma_f16 v103, v27, v74, -v2
	v_add_f16_e32 v106, v101, v1
	v_fma_f16 v29, v29, v226, -v3
	v_lshrrev_b32_e32 v3, 16, v13
	v_or_b32_e32 v25, 0x180, v217
	v_add_f16_e32 v2, v0, v103
	v_add_f16_e32 v104, v29, v0
	v_sub_f16_e32 v0, v0, v103
	v_fmac_f16_e32 v29, -0.5, v2
	v_add_f16_e32 v2, v1, v102
	v_sub_f16_e32 v1, v1, v102
	v_fmac_f16_e32 v101, -0.5, v2
	v_fmamk_f16 v108, v1, 0x3aee, v29
	v_fmac_f16_e32 v29, 0xbaee, v1
	v_lshrrev_b32_e32 v1, 16, v8
	v_lshrrev_b32_e32 v2, 16, v10
	v_fmamk_f16 v114, v0, 0xbaee, v101
	v_fmac_f16_e32 v101, 0x3aee, v0
	v_fmac_f16_e32 v110, v1, v227
	v_mul_f16_sdwa v1, v1, v227 dst_sel:DWORD dst_unused:UNUSED_PAD src0_sel:DWORD src1_sel:WORD_1
	v_fmac_f16_e32 v111, v2, v229
	v_mul_f16_sdwa v2, v2, v229 dst_sel:DWORD dst_unused:UNUSED_PAD src0_sel:DWORD src1_sel:WORD_1
	v_fma_f16 v112, v8, v227, -v1
	v_sub_f16_e32 v0, v110, v111
	v_fma_f16 v113, v10, v229, -v2
	v_mul_f16_e32 v2, -0.5, v29
	v_add_f16_e32 v115, v12, v112
	v_add_f16_e32 v1, v112, v113
	v_fmac_f16_e32 v2, 0x3aee, v101
	v_fmac_f16_e32 v12, -0.5, v1
	v_fmamk_f16 v109, v0, 0x3aee, v12
	v_fmac_f16_e32 v12, 0xbaee, v0
	v_mul_lo_u16 v0, 0x67, v217
	v_add_f16_e32 v116, v12, v2
	v_lshrrev_b16 v0, 10, v0
	v_sub_f16_e32 v117, v12, v2
	v_mul_lo_u16 v1, v0, 10
	v_mul_u32_u24_sdwa v0, v0, v146 dst_sel:DWORD dst_unused:UNUSED_PAD src0_sel:WORD_0 src1_sel:DWORD
	v_sub_nc_u16 v1, v217, v1
	v_and_b32_e32 v1, 0xff, v1
	v_mad_u64_u32 v[5:6], null, v1, 20, s[2:3]
	s_clause 0x1
	global_load_dword v107, v[5:6], off offset:16
	global_load_dwordx4 v[46:49], v[5:6], off
	v_add_lshl_u32 v94, v0, v1, 2
	s_waitcnt vmcnt(1)
	v_mul_f16_sdwa v8, v7, v107 dst_sel:DWORD dst_unused:UNUSED_PAD src0_sel:DWORD src1_sel:WORD_1
	s_waitcnt vmcnt(0)
	v_mul_f16_sdwa v2, v13, v46 dst_sel:DWORD dst_unused:UNUSED_PAD src0_sel:DWORD src1_sel:WORD_1
	v_mul_f16_sdwa v4, v3, v46 dst_sel:DWORD dst_unused:UNUSED_PAD src0_sel:DWORD src1_sel:WORD_1
	;; [unrolled: 1-line block ×3, first 2 shown]
	v_fma_f16 v8, v11, v107, -v8
	v_fmac_f16_e32 v2, v3, v46
	v_lshrrev_b32_e32 v3, 16, v9
	v_fma_f16 v4, v13, v46, -v4
	ds_read2st64_b32 v[12:13], v50 offset0:20 offset1:22
	v_mul_f16_sdwa v11, v11, v107 dst_sel:DWORD dst_unused:UNUSED_PAD src0_sel:DWORD src1_sel:WORD_1
	v_mul_f16_sdwa v5, v3, v48 dst_sel:DWORD dst_unused:UNUSED_PAD src0_sel:DWORD src1_sel:WORD_1
	v_fmac_f16_e32 v6, v3, v48
	v_fmac_f16_e32 v11, v7, v107
	v_fma_f16 v5, v9, v48, -v5
	v_mul_lo_u16 v9, 0xcd, v23
	v_lshrrev_b16 v27, 11, v9
	v_mul_lo_u16 v9, v27, 10
	s_waitcnt lgkmcnt(0)
	v_lshrrev_b32_e32 v10, 16, v12
	v_mul_f16_sdwa v15, v12, v47 dst_sel:DWORD dst_unused:UNUSED_PAD src0_sel:DWORD src1_sel:WORD_1
	v_lshrrev_b32_e32 v16, 16, v13
	v_sub_nc_u16 v9, v23, v9
	v_fmac_f16_e32 v15, v10, v47
	v_mul_f16_sdwa v10, v10, v47 dst_sel:DWORD dst_unused:UNUSED_PAD src0_sel:DWORD src1_sel:WORD_1
	v_and_b32_e32 v95, 0xff, v9
	v_fma_f16 v12, v12, v47, -v10
	v_mad_u64_u32 v[9:10], null, v95, 20, s[2:3]
	s_clause 0x1
	global_load_dword v91, v[9:10], off offset:16
	global_load_dwordx4 v[42:45], v[9:10], off
	ds_read2st64_b32 v[97:98], v50 offset0:32 offset1:34
	ds_read2st64_b32 v[118:119], v50 offset0:52 offset1:54
	;; [unrolled: 1-line block ×3, first 2 shown]
	s_waitcnt vmcnt(1) lgkmcnt(1)
	v_mul_f16_sdwa v133, v118, v91 dst_sel:DWORD dst_unused:UNUSED_PAD src0_sel:DWORD src1_sel:WORD_1
	s_waitcnt vmcnt(0)
	v_mul_f16_sdwa v9, v16, v43 dst_sel:DWORD dst_unused:UNUSED_PAD src0_sel:DWORD src1_sel:WORD_1
	v_mul_f16_sdwa v10, v13, v43 dst_sel:DWORD dst_unused:UNUSED_PAD src0_sel:DWORD src1_sel:WORD_1
	s_waitcnt lgkmcnt(0)
	v_mul_f16_sdwa v134, v120, v42 dst_sel:DWORD dst_unused:UNUSED_PAD src0_sel:DWORD src1_sel:WORD_1
	v_fma_f16 v9, v13, v43, -v9
	ds_read2st64_b32 v[13:14], v50 offset0:40 offset1:42
	v_fmac_f16_e32 v10, v16, v43
	v_mul_f16_sdwa v16, v97, v44 dst_sel:DWORD dst_unused:UNUSED_PAD src0_sel:DWORD src1_sel:WORD_1
	s_waitcnt lgkmcnt(0)
	v_lshrrev_b32_e32 v17, 16, v13
	v_lshrrev_b32_e32 v19, 16, v14
	v_mul_f16_sdwa v130, v14, v45 dst_sel:DWORD dst_unused:UNUSED_PAD src0_sel:DWORD src1_sel:WORD_1
	v_mul_f16_sdwa v18, v17, v49 dst_sel:DWORD dst_unused:UNUSED_PAD src0_sel:DWORD src1_sel:WORD_1
	;; [unrolled: 1-line block ×3, first 2 shown]
	v_fmac_f16_e32 v130, v19, v45
	v_lshrrev_b32_e32 v19, 16, v120
	v_fma_f16 v18, v13, v49, -v18
	v_fma_f16 v128, v14, v45, -v20
	v_mul_f16_sdwa v20, v13, v49 dst_sel:DWORD dst_unused:UNUSED_PAD src0_sel:DWORD src1_sel:WORD_1
	ds_read2st64_b32 v[13:14], v50 offset1:2
	v_fmac_f16_e32 v134, v19, v42
	v_mul_f16_sdwa v19, v19, v42 dst_sel:DWORD dst_unused:UNUSED_PAD src0_sel:DWORD src1_sel:WORD_1
	v_add_f16_e32 v3, v9, v128
	v_fmac_f16_e32 v20, v17, v49
	v_lshrrev_b32_e32 v17, 16, v118
	v_sub_f16_e32 v141, v15, v20
	v_fmac_f16_e32 v133, v17, v91
	v_mul_f16_sdwa v17, v17, v91 dst_sel:DWORD dst_unused:UNUSED_PAD src0_sel:DWORD src1_sel:WORD_1
	s_waitcnt lgkmcnt(0)
	v_lshrrev_b32_e32 v7, 16, v14
	v_add_f16_e32 v131, v14, v9
	v_fmac_f16_e32 v14, -0.5, v3
	v_sub_f16_e32 v3, v10, v130
	v_lshrrev_b32_e32 v140, 16, v13
	v_fmamk_f16 v132, v3, 0x3aee, v14
	v_fmac_f16_e32 v14, 0xbaee, v3
	v_lshrrev_b32_e32 v3, 16, v97
	v_fmac_f16_e32 v16, v3, v44
	v_mul_f16_sdwa v3, v3, v44 dst_sel:DWORD dst_unused:UNUSED_PAD src0_sel:DWORD src1_sel:WORD_1
	v_add_f16_e32 v136, v134, v16
	v_fma_f16 v3, v97, v44, -v3
	v_fma_f16 v97, v118, v91, -v17
	;; [unrolled: 1-line block ×3, first 2 shown]
	v_add_f16_e32 v17, v3, v97
	v_add_f16_e32 v120, v118, v3
	v_sub_f16_e32 v3, v3, v97
	v_fmac_f16_e32 v118, -0.5, v17
	v_sub_f16_e32 v17, v16, v133
	v_fmamk_f16 v135, v17, 0x3aee, v118
	v_fmac_f16_e32 v118, 0xbaee, v17
	v_add_f16_e32 v17, v16, v133
	v_add_f16_e32 v16, v12, v18
	v_fmac_f16_e32 v134, -0.5, v17
	v_fma_f16 v138, -0.5, v16, v13
	v_add_f16_e32 v13, v13, v12
	v_add_f16_e32 v16, v15, v20
	v_sub_f16_e32 v12, v12, v18
	v_fmamk_f16 v137, v3, 0xbaee, v134
	v_fmac_f16_e32 v134, 0x3aee, v3
	v_mul_f16_e32 v3, -0.5, v118
	v_add_f16_e32 v143, v13, v18
	v_add_f16_e32 v13, v6, v11
	v_fmac_f16_e32 v3, 0x3aee, v134
	v_add_f16_e32 v139, v14, v3
	v_sub_f16_e32 v3, v14, v3
	v_add_f16_e32 v14, v140, v15
	v_add_f16_e32 v15, v5, v8
	v_fmac_f16_e32 v140, -0.5, v16
	v_add_f16_e32 v142, v14, v20
	v_add_f16_e32 v14, v2, v6
	v_fmac_f16_e32 v2, -0.5, v13
	v_add_f16_e32 v13, v4, v5
	v_sub_f16_e32 v5, v5, v8
	v_fmac_f16_e32 v4, -0.5, v15
	v_sub_f16_e32 v6, v6, v11
	v_add_f16_e32 v11, v14, v11
	v_add_f16_e32 v8, v13, v8
	v_fmamk_f16 v13, v5, 0xbaee, v2
	v_fmamk_f16 v149, v12, 0xbaee, v140
	;; [unrolled: 1-line block ×3, first 2 shown]
	v_add_f16_e32 v1, v142, v11
	v_add_f16_e32 v0, v143, v8
	v_mul_f16_e32 v144, 0x3aee, v13
	v_fmac_f16_e32 v4, 0xbaee, v6
	v_mul_f16_e32 v145, 0xbaee, v14
	v_fmac_f16_e32 v2, 0x3aee, v5
	v_pack_b32_f16 v0, v0, v1
	v_fmac_f16_e32 v144, 0.5, v14
	v_fmamk_f16 v1, v141, 0x3aee, v138
	v_fmac_f16_e32 v145, 0.5, v13
	v_fmac_f16_e32 v138, 0xbaee, v141
	v_fmac_f16_e32 v140, 0x3aee, v12
	v_sub_f16_e32 v5, v142, v11
	v_add_f16_e32 v13, v1, v144
	v_add_f16_e32 v14, v149, v145
	v_sub_f16_e32 v1, v1, v144
	v_pack_b32_f16 v150, v13, v14
	v_mul_u32_u24_e32 v13, 0x199a, v25
	v_lshrrev_b32_e32 v158, 16, v13
	v_mul_u32_u24_e32 v13, 0x199a, v30
	v_lshrrev_b32_e32 v159, 16, v13
	v_mul_lo_u16 v13, v158, 10
	v_sub_nc_u16 v160, v25, v13
	v_mul_lo_u16 v13, v159, 10
	v_sub_nc_u16 v161, v30, v13
	v_mul_lo_u16 v13, v160, 20
	v_mul_lo_u16 v14, v161, 20
	v_and_b32_e32 v13, 0xffff, v13
	v_and_b32_e32 v15, 0xffff, v14
	v_add_co_u32 v13, s0, s2, v13
	v_add_co_ci_u32_e64 v14, null, s3, 0, s0
	v_add_co_u32 v15, s0, s2, v15
	v_add_co_ci_u32_e64 v16, null, s3, 0, s0
	s_clause 0x3
	global_load_dword v92, v[13:14], off offset:16
	global_load_dword v93, v[15:16], off offset:16
	global_load_dwordx4 v[17:20], v[15:16], off
	global_load_dwordx4 v[13:16], v[13:14], off
	ds_read2st64_b32 v[122:123], v50 offset0:4 offset1:6
	ds_read2st64_b32 v[124:125], v50 offset0:24 offset1:26
	;; [unrolled: 1-line block ×3, first 2 shown]
	s_waitcnt vmcnt(0) lgkmcnt(0)
	s_barrier
	buffer_gl0_inv
	ds_write2_b32 v94, v0, v150 offset1:10
	v_mul_f16_e32 v0, -0.5, v4
	v_lshrrev_b32_e32 v150, 17, v180
	v_fmac_f16_e32 v0, 0x3aee, v2
	v_mul_f16_e32 v2, -0.5, v2
	v_add_f16_e32 v6, v138, v0
	v_fmac_f16_e32 v2, 0xbaee, v4
	v_sub_f16_e32 v4, v143, v8
	v_sub_f16_e32 v0, v138, v0
	v_add_f16_e32 v8, v140, v2
	v_pack_b32_f16 v4, v4, v5
	v_sub_f16_e32 v2, v140, v2
	v_add_f16_e32 v5, v136, v133
	v_pack_b32_f16 v6, v6, v8
	v_mul_f16_e32 v8, 0x3aee, v137
	v_pack_b32_f16 v0, v0, v2
	v_sub_f16_e32 v2, v9, v128
	v_mul_f16_e32 v9, 0xbaee, v135
	ds_write2_b32 v94, v6, v4 offset0:20 offset1:30
	v_sub_f16_e32 v4, v149, v145
	v_mul_u32_u24_sdwa v6, v27, v146 dst_sel:DWORD dst_unused:UNUSED_PAD src0_sel:WORD_0 src1_sel:DWORD
	v_fmac_f16_e32 v8, 0.5, v135
	v_fmac_f16_e32 v9, 0.5, v137
	v_lshrrev_b32_e32 v27, 16, v24
	v_pack_b32_f16 v1, v1, v4
	v_add_f16_e32 v4, v120, v97
	v_add_lshl_u32 v95, v6, v95, 2
	v_add_f16_e32 v11, v132, v8
	ds_write2_b32 v94, v1, v0 offset0:40 offset1:50
	v_add_f16_e32 v0, v7, v10
	v_add_f16_e32 v1, v10, v130
	;; [unrolled: 1-line block ×3, first 2 shown]
	v_fmac_f16_e32 v7, -0.5, v1
	v_add_f16_e32 v1, v131, v128
	v_add_f16_e32 v10, v0, v5
	v_sub_f16_e32 v0, v0, v5
	v_add_f16_e32 v6, v1, v4
	v_sub_f16_e32 v1, v1, v4
	v_pack_b32_f16 v6, v6, v10
	v_fmamk_f16 v10, v2, 0xbaee, v7
	v_fmac_f16_e32 v7, 0x3aee, v2
	v_mul_f16_e32 v2, -0.5, v134
	v_pack_b32_f16 v0, v1, v0
	v_add_f16_e32 v12, v10, v9
	v_sub_f16_e32 v1, v10, v9
	v_fmac_f16_e32 v2, 0xbaee, v118
	v_lshrrev_b32_e32 v9, 16, v124
	v_pack_b32_f16 v11, v11, v12
	v_add_f16_e32 v4, v7, v2
	v_sub_f16_e32 v2, v7, v2
	ds_write2_b32 v95, v6, v11 offset1:10
	v_lshrrev_b32_e32 v6, 16, v119
	v_pack_b32_f16 v4, v139, v4
	v_lshrrev_b32_e32 v11, 16, v125
	ds_write2_b32 v95, v4, v0 offset0:20 offset1:30
	v_sub_f16_e32 v0, v132, v8
	v_pack_b32_f16 v0, v0, v1
	v_pack_b32_f16 v1, v3, v2
	v_lshrrev_b32_e32 v3, 16, v98
	ds_write2_b32 v95, v0, v1 offset0:40 offset1:50
	v_lshrrev_b32_e32 v0, 16, v121
	v_mul_f16_sdwa v7, v6, v93 dst_sel:DWORD dst_unused:UNUSED_PAD src0_sel:DWORD src1_sel:WORD_1
	v_mul_f16_sdwa v2, v121, v17 dst_sel:DWORD dst_unused:UNUSED_PAD src0_sel:DWORD src1_sel:WORD_1
	;; [unrolled: 1-line block ×5, first 2 shown]
	v_fma_f16 v7, v119, v93, -v7
	v_fmac_f16_e32 v2, v0, v17
	v_lshrrev_b32_e32 v0, 16, v28
	v_mul_f16_sdwa v10, v124, v18 dst_sel:DWORD dst_unused:UNUSED_PAD src0_sel:DWORD src1_sel:WORD_1
	v_lshrrev_b32_e32 v119, 16, v127
	v_mul_f16_sdwa v4, v3, v19 dst_sel:DWORD dst_unused:UNUSED_PAD src0_sel:DWORD src1_sel:WORD_1
	v_fmac_f16_e32 v5, v3, v19
	v_mul_f16_sdwa v3, v0, v13 dst_sel:DWORD dst_unused:UNUSED_PAD src0_sel:DWORD src1_sel:WORD_1
	v_fmac_f16_e32 v10, v9, v18
	v_mul_f16_sdwa v9, v9, v18 dst_sel:DWORD dst_unused:UNUSED_PAD src0_sel:DWORD src1_sel:WORD_1
	v_mul_f16_sdwa v12, v11, v14 dst_sel:DWORD dst_unused:UNUSED_PAD src0_sel:DWORD src1_sel:WORD_1
	;; [unrolled: 1-line block ×3, first 2 shown]
	v_fma_f16 v1, v121, v17, -v1
	v_fmac_f16_e32 v8, v6, v93
	v_fma_f16 v3, v28, v13, -v3
	v_mul_f16_sdwa v6, v28, v13 dst_sel:DWORD dst_unused:UNUSED_PAD src0_sel:DWORD src1_sel:WORD_1
	v_fma_f16 v9, v124, v18, -v9
	v_fma_f16 v12, v125, v14, -v12
	v_mul_f16_sdwa v28, v125, v14 dst_sel:DWORD dst_unused:UNUSED_PAD src0_sel:DWORD src1_sel:WORD_1
	v_fma_f16 v120, v127, v16, -v120
	v_mul_f16_sdwa v121, v127, v16 dst_sel:DWORD dst_unused:UNUSED_PAD src0_sel:DWORD src1_sel:WORD_1
	v_lshrrev_b32_e32 v124, 16, v26
	v_mul_f16_sdwa v97, v27, v15 dst_sel:DWORD dst_unused:UNUSED_PAD src0_sel:DWORD src1_sel:WORD_1
	v_fmac_f16_e32 v6, v0, v13
	v_fmac_f16_e32 v28, v11, v14
	;; [unrolled: 1-line block ×3, first 2 shown]
	v_mul_f16_sdwa v125, v124, v92 dst_sel:DWORD dst_unused:UNUSED_PAD src0_sel:DWORD src1_sel:WORD_1
	v_add_f16_e32 v0, v12, v120
	v_fma_f16 v4, v98, v19, -v4
	v_fma_f16 v97, v24, v15, -v97
	v_mul_f16_sdwa v24, v24, v15 dst_sel:DWORD dst_unused:UNUSED_PAD src0_sel:DWORD src1_sel:WORD_1
	v_lshrrev_b32_e32 v98, 16, v126
	v_mul_f16_sdwa v118, v126, v20 dst_sel:DWORD dst_unused:UNUSED_PAD src0_sel:DWORD src1_sel:WORD_1
	v_fma_f16 v125, v26, v92, -v125
	v_mul_f16_sdwa v26, v26, v92 dst_sel:DWORD dst_unused:UNUSED_PAD src0_sel:DWORD src1_sel:WORD_1
	v_lshrrev_b32_e32 v11, 16, v123
	v_add_f16_e32 v119, v123, v12
	v_fmac_f16_e32 v123, -0.5, v0
	v_sub_f16_e32 v0, v28, v121
	v_fmac_f16_e32 v118, v98, v20
	v_mul_f16_sdwa v98, v98, v20 dst_sel:DWORD dst_unused:UNUSED_PAD src0_sel:DWORD src1_sel:WORD_1
	v_fmac_f16_e32 v24, v27, v15
	v_fmac_f16_e32 v26, v124, v92
	v_fmamk_f16 v124, v0, 0x3aee, v123
	v_fmac_f16_e32 v123, 0xbaee, v0
	v_add_f16_e32 v0, v97, v125
	v_fma_f16 v98, v126, v20, -v98
	v_add_f16_e32 v126, v3, v97
	v_add_f16_e32 v131, v10, v118
	v_fmac_f16_e32 v3, -0.5, v0
	v_sub_f16_e32 v0, v24, v26
	v_add_f16_e32 v27, v9, v98
	v_fmamk_f16 v127, v0, 0x3aee, v3
	v_fmac_f16_e32 v3, 0xbaee, v0
	v_add_f16_e32 v0, v24, v26
	v_add_f16_e32 v24, v6, v24
	v_fma_f16 v128, -0.5, v27, v122
	v_add_f16_e32 v27, v122, v9
	v_sub_f16_e32 v9, v9, v98
	v_fmac_f16_e32 v6, -0.5, v0
	v_sub_f16_e32 v0, v97, v125
	v_fmamk_f16 v97, v0, 0xbaee, v6
	v_fmac_f16_e32 v6, 0x3aee, v0
	v_mul_f16_e32 v0, -0.5, v3
	v_fmac_f16_e32 v0, 0x3aee, v6
	v_add_f16_e32 v130, v123, v0
	v_sub_f16_e32 v0, v123, v0
	v_lshrrev_b32_e32 v123, 16, v122
	v_add_f16_e32 v122, v123, v10
	v_sub_f16_e32 v10, v10, v118
	v_fmac_f16_e32 v123, -0.5, v131
	v_add_f16_e32 v131, v4, v7
	v_add_f16_e32 v118, v122, v118
	v_add_f16_e32 v122, v27, v98
	v_add_f16_e32 v27, v5, v8
	v_add_f16_e32 v98, v2, v5
	v_sub_f16_e32 v5, v5, v8
	v_fmamk_f16 v134, v10, 0x3aee, v128
	v_fmamk_f16 v135, v9, 0xbaee, v123
	v_fmac_f16_e32 v2, -0.5, v27
	v_add_f16_e32 v27, v1, v4
	v_sub_f16_e32 v4, v4, v7
	v_fmac_f16_e32 v1, -0.5, v131
	v_add_f16_e32 v8, v98, v8
	v_fmac_f16_e32 v128, 0xbaee, v10
	v_add_f16_e32 v7, v27, v7
	v_fmamk_f16 v27, v4, 0xbaee, v2
	v_fmamk_f16 v98, v5, 0x3aee, v1
	v_fmac_f16_e32 v1, 0xbaee, v5
	v_fmac_f16_e32 v2, 0x3aee, v4
	v_add_f16_e32 v133, v118, v8
	v_mul_f16_e32 v131, 0x3aee, v27
	v_mul_f16_e32 v132, 0xbaee, v98
	v_mul_f16_e32 v4, -0.5, v1
	v_fmac_f16_e32 v123, 0x3aee, v9
	v_sub_f16_e32 v5, v118, v8
	v_fmac_f16_e32 v131, 0.5, v98
	v_fmac_f16_e32 v132, 0.5, v27
	v_add_f16_e32 v27, v122, v7
	v_fmac_f16_e32 v4, 0x3aee, v2
	v_mul_f16_e32 v2, -0.5, v2
	v_mad_u16 v98, v159, 60, v161
	v_add_f16_e32 v136, v135, v132
	v_pack_b32_f16 v133, v27, v133
	v_add_f16_e32 v27, v134, v131
	v_fmac_f16_e32 v2, 0xbaee, v1
	v_sub_f16_e32 v1, v122, v7
	v_add_f16_e32 v7, v128, v4
	v_sub_f16_e32 v4, v128, v4
	v_pack_b32_f16 v136, v27, v136
	v_mov_b32_e32 v27, 2
	v_add_f16_e32 v8, v123, v2
	v_pack_b32_f16 v1, v1, v5
	v_sub_f16_e32 v5, v135, v132
	v_sub_f16_e32 v2, v123, v2
	v_lshlrev_b32_sdwa v98, v27, v98 dst_sel:DWORD dst_unused:UNUSED_PAD src0_sel:DWORD src1_sel:WORD_0
	v_pack_b32_f16 v7, v7, v8
	v_mul_f16_e32 v8, 0x3aee, v97
	v_mul_f16_e32 v9, 0xbaee, v127
	v_pack_b32_f16 v2, v4, v2
	v_sub_f16_e32 v4, v12, v120
	ds_write2_b32 v98, v7, v1 offset0:20 offset1:30
	v_sub_f16_e32 v1, v134, v131
	v_add_f16_e32 v7, v24, v26
	v_mad_u16 v10, v158, 60, v160
	v_fmac_f16_e32 v8, 0.5, v127
	v_fmac_f16_e32 v9, 0.5, v97
	v_pack_b32_f16 v1, v1, v5
	v_add_f16_e32 v5, v126, v125
	v_lshlrev_b32_sdwa v97, v27, v10 dst_sel:DWORD dst_unused:UNUSED_PAD src0_sel:DWORD src1_sel:WORD_0
	ds_write2_b32 v98, v133, v136 offset1:10
	v_add_f16_e32 v26, v124, v8
	ds_write2_b32 v98, v1, v2 offset0:40 offset1:50
	v_add_f16_e32 v1, v11, v28
	v_add_f16_e32 v2, v28, v121
	v_lshrrev_b32_e32 v159, 17, v177
	v_lshrrev_b32_e32 v161, 17, v176
	v_add_f16_e32 v1, v1, v121
	v_fmac_f16_e32 v11, -0.5, v2
	v_add_f16_e32 v2, v119, v120
	v_add_f16_e32 v24, v1, v7
	v_sub_f16_e32 v1, v1, v7
	v_add_f16_e32 v12, v2, v5
	v_sub_f16_e32 v2, v2, v5
	v_mul_f16_e32 v5, 0x3aee, v114
	v_mad_u16 v7, v99, 60, v100
	v_pack_b32_f16 v12, v12, v24
	v_fmamk_f16 v24, v4, 0xbaee, v11
	v_fmac_f16_e32 v11, 0x3aee, v4
	v_mul_f16_e32 v4, -0.5, v6
	v_pack_b32_f16 v1, v2, v1
	v_mul_f16_e32 v6, 0xbaee, v108
	v_sub_f16_e32 v2, v24, v9
	v_add_f16_e32 v28, v24, v9
	v_fmac_f16_e32 v4, 0xbaee, v3
	v_fmac_f16_e32 v5, 0.5, v108
	v_fmac_f16_e32 v6, 0.5, v114
	v_lshlrev_b32_sdwa v99, v27, v7 dst_sel:DWORD dst_unused:UNUSED_PAD src0_sel:DWORD src1_sel:WORD_0
	v_pack_b32_f16 v26, v26, v28
	v_add_f16_e32 v3, v11, v4
	v_add_f16_e32 v10, v109, v5
	v_mul_u32_u24_e32 v28, 0x445, v22
	v_mul_lo_u16 v24, 0x89, v23
	ds_write2_b32 v97, v12, v26 offset1:10
	v_pack_b32_f16 v3, v130, v3
	v_lshrrev_b32_e32 v7, 16, v170
	v_lshrrev_b32_e32 v26, 16, v28
	ds_write2_b32 v97, v3, v1 offset0:20 offset1:30
	v_sub_f16_e32 v1, v124, v8
	v_sub_f16_e32 v3, v11, v4
	v_add_f16_e32 v4, v106, v102
	v_pack_b32_f16 v1, v1, v2
	v_pack_b32_f16 v0, v0, v3
	v_add_f16_e32 v2, v115, v113
	v_add_f16_e32 v3, v104, v103
	ds_write2_b32 v97, v1, v0 offset0:40 offset1:50
	v_add_f16_e32 v1, v105, v110
	v_add_f16_e32 v0, v110, v111
	;; [unrolled: 1-line block ×3, first 2 shown]
	v_sub_f16_e32 v2, v2, v3
	v_add_f16_e32 v1, v1, v111
	v_fmac_f16_e32 v105, -0.5, v0
	v_sub_f16_e32 v0, v112, v113
	v_add_f16_e32 v9, v1, v4
	v_sub_f16_e32 v1, v1, v4
	v_mul_u32_u24_e32 v4, 0x445, v25
	v_pack_b32_f16 v8, v8, v9
	v_fmamk_f16 v9, v0, 0xbaee, v105
	v_fmac_f16_e32 v105, 0x3aee, v0
	v_mul_f16_e32 v0, -0.5, v101
	v_pack_b32_f16 v1, v2, v1
	v_lshrrev_b32_e32 v4, 16, v4
	v_sub_f16_e32 v2, v9, v6
	v_add_f16_e32 v11, v9, v6
	v_fmac_f16_e32 v0, 0xbaee, v29
	v_mul_lo_u16 v29, v26, 60
	v_mul_lo_u16 v6, v4, 60
	v_pack_b32_f16 v10, v10, v11
	v_add_f16_e32 v3, v105, v0
	v_sub_f16_e32 v0, v105, v0
	v_sub_nc_u16 v102, v22, v29
	v_sub_nc_u16 v6, v25, v6
	ds_write2_b32 v99, v8, v10 offset1:10
	v_pack_b32_f16 v3, v116, v3
	v_pack_b32_f16 v0, v117, v0
	v_mul_lo_u16 v8, v7, 60
	v_lshrrev_b32_e32 v11, 16, v173
	v_mad_u16 v4, 0x78, v4, v6
	ds_write2_b32 v99, v3, v1 offset0:20 offset1:30
	v_sub_f16_e32 v1, v109, v5
	v_mul_u32_u24_e32 v3, 0x445, v30
	v_sub_nc_u16 v8, v168, v8
	v_mul_lo_u16 v12, v11, 60
	v_pack_b32_f16 v1, v1, v2
	v_mov_b32_e32 v2, 0x78
	v_lshrrev_b32_e32 v3, 16, v3
	v_sub_nc_u16 v12, v153, v12
	ds_write2_b32 v99, v1, v0 offset0:40 offset1:50
	v_mul_lo_u16 v0, 0x89, v217
	v_mul_lo_u16 v5, v3, 60
	v_lshrrev_b16 v0, 13, v0
	v_sub_nc_u16 v5, v30, v5
	v_mul_lo_u16 v1, v0, 60
	v_mul_u32_u24_sdwa v0, v0, v2 dst_sel:DWORD dst_unused:UNUSED_PAD src0_sel:WORD_0 src1_sel:DWORD
	v_lshlrev_b32_sdwa v29, v27, v5 dst_sel:DWORD dst_unused:UNUSED_PAD src0_sel:DWORD src1_sel:WORD_0
	v_sub_nc_u16 v1, v217, v1
	v_and_b32_e32 v1, 0xff, v1
	v_add_lshl_u32 v129, v0, v1, 2
	v_lshlrev_b32_e32 v0, 2, v1
	buffer_store_dword v129, off, s[20:23], 0 offset:4 ; 4-byte Folded Spill
	s_waitcnt lgkmcnt(0)
	s_waitcnt_vscnt null, 0x0
	s_barrier
	buffer_gl0_inv
	s_clause 0x1
	global_load_dword v116, v0, s[2:3] offset:200
	global_load_dword v115, v29, s[2:3] offset:200
	v_lshrrev_b16 v0, 13, v24
	v_lshlrev_b32_sdwa v29, v27, v6 dst_sel:DWORD dst_unused:UNUSED_PAD src0_sel:DWORD src1_sel:WORD_0
	ds_read2st64_b32 v[130:131], v50 offset0:28 offset1:30
	ds_read2st64_b32 v[117:118], v50 offset1:2
	v_lshrrev_b32_e32 v6, 17, v170
	v_mul_lo_u16 v1, v0, 60
	global_load_dword v113, v29, s[2:3] offset:200
	v_lshlrev_b32_sdwa v29, v27, v8 dst_sel:DWORD dst_unused:UNUSED_PAD src0_sel:DWORD src1_sel:WORD_0
	v_mul_u32_u24_sdwa v0, v0, v2 dst_sel:DWORD dst_unused:UNUSED_PAD src0_sel:WORD_0 src1_sel:DWORD
	v_sub_nc_u16 v1, v23, v1
	global_load_dword v112, v29, s[2:3] offset:200
	v_and_b32_e32 v1, 0xff, v1
	v_lshlrev_b32_e32 v9, 2, v1
	s_waitcnt lgkmcnt(0)
	v_lshrrev_b32_e32 v101, 16, v117
	global_load_dword v114, v9, s[2:3] offset:200
	v_lshrrev_b32_e32 v9, 16, v172
	v_mul_lo_u16 v10, v9, 60
	v_sub_nc_u16 v10, v169, v10
	v_lshlrev_b32_sdwa v29, v27, v10 dst_sel:DWORD dst_unused:UNUSED_PAD src0_sel:DWORD src1_sel:WORD_0
	global_load_dword v110, v29, s[2:3] offset:200
	v_lshlrev_b32_sdwa v29, v27, v12 dst_sel:DWORD dst_unused:UNUSED_PAD src0_sel:DWORD src1_sel:WORD_0
	global_load_dword v108, v29, s[2:3] offset:200
	;; [unrolled: 2-line block ×3, first 2 shown]
	v_lshrrev_b32_e32 v29, 16, v131
	s_waitcnt vmcnt(7)
	v_mul_f16_sdwa v100, v131, v116 dst_sel:DWORD dst_unused:UNUSED_PAD src0_sel:DWORD src1_sel:WORD_1
	v_fmac_f16_e32 v100, v29, v116
	v_mul_f16_sdwa v29, v29, v116 dst_sel:DWORD dst_unused:UNUSED_PAD src0_sel:DWORD src1_sel:WORD_1
	v_sub_f16_e32 v100, v101, v100
	v_fma_f16 v29, v131, v116, -v29
	v_fma_f16 v101, v101, 2.0, -v100
	v_sub_f16_e32 v29, v117, v29
	v_fma_f16 v103, v117, 2.0, -v29
	v_pack_b32_f16 v149, v29, v100
	v_mul_lo_u16 v29, v150, 60
	v_pack_b32_f16 v117, v103, v101
	v_sub_nc_u16 v158, v157, v29
	v_mul_lo_u16 v29, v159, 60
	v_sub_nc_u16 v160, v154, v29
	v_mul_lo_u16 v29, v161, 60
	;; [unrolled: 2-line block ×5, first 2 shown]
	v_sub_nc_u16 v181, v151, v29
	v_mul_u32_u24_e32 v29, 0x889, v166
	v_lshrrev_b32_e32 v182, 17, v29
	v_lshrrev_b32_e32 v202, 18, v29
	v_mul_lo_u16 v100, v182, 60
	v_sub_nc_u16 v183, v166, v100
	v_lshlrev_b32_sdwa v100, v27, v158 dst_sel:DWORD dst_unused:UNUSED_PAD src0_sel:DWORD src1_sel:WORD_0
	global_load_dword v111, v100, s[2:3] offset:200
	v_lshlrev_b32_sdwa v100, v27, v160 dst_sel:DWORD dst_unused:UNUSED_PAD src0_sel:DWORD src1_sel:WORD_0
	global_load_dword v109, v100, s[2:3] offset:200
	;; [unrolled: 2-line block ×7, first 2 shown]
	ds_read2st64_b32 v[119:120], v50 offset0:32 offset1:34
	ds_read2st64_b32 v[121:122], v50 offset0:4 offset1:6
	;; [unrolled: 1-line block ×13, first 2 shown]
	s_waitcnt vmcnt(0) lgkmcnt(0)
	s_barrier
	buffer_gl0_inv
	ds_write2_b32 v129, v117, v149 offset1:60
	v_add_lshl_u32 v129, v0, v1, 2
	v_lshrrev_b32_e32 v2, 16, v119
	v_mul_f16_sdwa v117, v119, v114 dst_sel:DWORD dst_unused:UNUSED_PAD src0_sel:DWORD src1_sel:WORD_1
	buffer_store_dword v129, off, s[20:23], 0 offset:8 ; 4-byte Folded Spill
	v_fmac_f16_e32 v117, v2, v114
	v_mul_f16_sdwa v2, v2, v114 dst_sel:DWORD dst_unused:UNUSED_PAD src0_sel:DWORD src1_sel:WORD_1
	v_fma_f16 v2, v119, v114, -v2
	v_lshrrev_b32_e32 v119, 16, v118
	v_sub_f16_e32 v2, v118, v2
	v_sub_f16_e32 v0, v119, v117
	v_fma_f16 v118, v118, 2.0, -v2
	v_fma_f16 v1, v119, 2.0, -v0
	v_pack_b32_f16 v0, v2, v0
	v_mul_f16_sdwa v2, v120, v115 dst_sel:DWORD dst_unused:UNUSED_PAD src0_sel:DWORD src1_sel:WORD_1
	v_lshrrev_b32_e32 v119, 18, v177
	v_pack_b32_f16 v1, v118, v1
	ds_write2_b32 v129, v1, v0 offset1:60
	v_lshrrev_b32_e32 v0, 16, v120
	v_mul_f16_sdwa v1, v0, v115 dst_sel:DWORD dst_unused:UNUSED_PAD src0_sel:DWORD src1_sel:WORD_1
	v_fmac_f16_e32 v2, v0, v115
	v_mad_u16 v0, 0x78, v3, v5
	v_lshrrev_b32_e32 v3, 16, v121
	v_fma_f16 v1, v120, v115, -v1
	v_mul_lo_u16 v120, 0x78, v119
	v_lshlrev_b32_sdwa v0, v27, v0 dst_sel:DWORD dst_unused:UNUSED_PAD src0_sel:DWORD src1_sel:WORD_0
	v_sub_f16_e32 v2, v3, v2
	v_sub_f16_e32 v1, v121, v1
	v_sub_nc_u16 v120, v154, v120
	buffer_store_dword v0, off, s[20:23], 0 offset:12 ; 4-byte Folded Spill
	v_fma_f16 v3, v3, 2.0, -v2
	v_fma_f16 v5, v121, 2.0, -v1
	v_pack_b32_f16 v1, v1, v2
	v_lshrrev_b32_e32 v2, 16, v122
	v_lshrrev_b32_e32 v121, 18, v176
	v_pack_b32_f16 v3, v5, v3
	ds_write2_b32 v0, v3, v1 offset1:60
	v_lshrrev_b32_e32 v0, 16, v123
	v_mul_f16_sdwa v1, v123, v113 dst_sel:DWORD dst_unused:UNUSED_PAD src0_sel:DWORD src1_sel:WORD_1
	v_fmac_f16_e32 v1, v0, v113
	v_mul_f16_sdwa v0, v0, v113 dst_sel:DWORD dst_unused:UNUSED_PAD src0_sel:DWORD src1_sel:WORD_1
	v_sub_f16_e32 v1, v2, v1
	v_fma_f16 v0, v123, v113, -v0
	v_lshrrev_b32_e32 v123, 18, v175
	v_fma_f16 v2, v2, 2.0, -v1
	v_sub_f16_e32 v0, v122, v0
	v_fma_f16 v3, v122, 2.0, -v0
	v_pack_b32_f16 v0, v0, v1
	v_lshlrev_b32_sdwa v1, v27, v4 dst_sel:DWORD dst_unused:UNUSED_PAD src0_sel:DWORD src1_sel:WORD_0
	v_mul_lo_u16 v122, 0x78, v121
	v_pack_b32_f16 v2, v3, v2
	v_lshrrev_b32_e32 v3, 16, v125
	buffer_store_dword v1, off, s[20:23], 0 offset:16 ; 4-byte Folded Spill
	v_sub_nc_u16 v122, v156, v122
	ds_write2_b32 v1, v2, v0 offset1:60
	v_lshrrev_b32_e32 v0, 16, v124
	v_mul_f16_sdwa v2, v124, v112 dst_sel:DWORD dst_unused:UNUSED_PAD src0_sel:DWORD src1_sel:WORD_1
	v_mul_f16_sdwa v1, v0, v112 dst_sel:DWORD dst_unused:UNUSED_PAD src0_sel:DWORD src1_sel:WORD_1
	v_fmac_f16_e32 v2, v0, v112
	v_mad_u16 v0, 0x78, v7, v8
	v_mul_lo_u16 v7, 0x78, v6
	v_fma_f16 v1, v124, v112, -v1
	v_sub_f16_e32 v2, v3, v2
	v_lshlrev_b32_sdwa v0, v27, v0 dst_sel:DWORD dst_unused:UNUSED_PAD src0_sel:DWORD src1_sel:WORD_0
	v_sub_nc_u16 v7, v168, v7
	v_mul_lo_u16 v124, 0x78, v123
	v_sub_f16_e32 v1, v125, v1
	v_fma_f16 v3, v3, 2.0, -v2
	buffer_store_dword v0, off, s[20:23], 0 offset:20 ; 4-byte Folded Spill
	v_sub_nc_u16 v124, v167, v124
	v_fma_f16 v4, v125, 2.0, -v1
	v_pack_b32_f16 v1, v1, v2
	v_lshrrev_b32_e32 v2, 16, v126
	v_pack_b32_f16 v3, v4, v3
	v_mad_u16 v4, 0x78, v9, v10
	v_lshrrev_b32_e32 v10, 17, v173
	ds_write2_b32 v0, v3, v1 offset1:60
	v_lshrrev_b32_e32 v0, 16, v127
	v_mul_f16_sdwa v1, v127, v110 dst_sel:DWORD dst_unused:UNUSED_PAD src0_sel:DWORD src1_sel:WORD_1
	v_fmac_f16_e32 v1, v0, v110
	v_mul_f16_sdwa v0, v0, v110 dst_sel:DWORD dst_unused:UNUSED_PAD src0_sel:DWORD src1_sel:WORD_1
	v_sub_f16_e32 v1, v2, v1
	v_fma_f16 v0, v127, v110, -v0
	v_fma_f16 v2, v2, 2.0, -v1
	v_sub_f16_e32 v0, v126, v0
	v_fma_f16 v3, v126, 2.0, -v0
	v_pack_b32_f16 v0, v0, v1
	v_lshlrev_b32_sdwa v1, v27, v4 dst_sel:DWORD dst_unused:UNUSED_PAD src0_sel:DWORD src1_sel:WORD_0
	v_pack_b32_f16 v2, v3, v2
	v_lshrrev_b32_e32 v3, 16, v131
	buffer_store_dword v1, off, s[20:23], 0 offset:24 ; 4-byte Folded Spill
	ds_write2_b32 v1, v2, v0 offset1:60
	v_lshrrev_b32_e32 v0, 16, v128
	v_mul_f16_sdwa v2, v128, v108 dst_sel:DWORD dst_unused:UNUSED_PAD src0_sel:DWORD src1_sel:WORD_1
	v_mul_f16_sdwa v1, v0, v108 dst_sel:DWORD dst_unused:UNUSED_PAD src0_sel:DWORD src1_sel:WORD_1
	v_fmac_f16_e32 v2, v0, v108
	v_mad_u16 v0, 0x78, v11, v12
	v_mul_lo_u16 v11, 0x78, v10
	v_lshrrev_b32_e32 v12, 17, v28
	v_fma_f16 v1, v128, v108, -v1
	v_sub_f16_e32 v2, v3, v2
	v_lshlrev_b32_sdwa v0, v27, v0 dst_sel:DWORD dst_unused:UNUSED_PAD src0_sel:DWORD src1_sel:WORD_0
	v_sub_nc_u16 v11, v153, v11
	v_sub_f16_e32 v1, v131, v1
	v_fma_f16 v3, v3, 2.0, -v2
	buffer_store_dword v0, off, s[20:23], 0 offset:28 ; 4-byte Folded Spill
	v_fma_f16 v4, v131, 2.0, -v1
	v_pack_b32_f16 v1, v1, v2
	v_lshrrev_b32_e32 v2, 16, v132
	v_pack_b32_f16 v3, v4, v3
	v_mad_u16 v4, 0x78, v26, v102
	ds_write2_b32 v0, v3, v1 offset1:60
	v_lshrrev_b32_e32 v0, 16, v133
	v_mul_f16_sdwa v1, v133, v105 dst_sel:DWORD dst_unused:UNUSED_PAD src0_sel:DWORD src1_sel:WORD_1
	v_fmac_f16_e32 v1, v0, v105
	v_mul_f16_sdwa v0, v0, v105 dst_sel:DWORD dst_unused:UNUSED_PAD src0_sel:DWORD src1_sel:WORD_1
	v_sub_f16_e32 v1, v2, v1
	v_fma_f16 v0, v133, v105, -v0
	v_fma_f16 v2, v2, 2.0, -v1
	v_sub_f16_e32 v0, v132, v0
	v_fma_f16 v3, v132, 2.0, -v0
	v_pack_b32_f16 v0, v0, v1
	v_lshlrev_b32_sdwa v1, v27, v4 dst_sel:DWORD dst_unused:UNUSED_PAD src0_sel:DWORD src1_sel:WORD_0
	v_pack_b32_f16 v2, v3, v2
	v_lshrrev_b32_e32 v3, 16, v135
	buffer_store_dword v1, off, s[20:23], 0 offset:32 ; 4-byte Folded Spill
	ds_write2_b32 v1, v2, v0 offset1:60
	v_lshrrev_b32_e32 v0, 16, v134
	v_mul_f16_sdwa v1, v0, v111 dst_sel:DWORD dst_unused:UNUSED_PAD src0_sel:DWORD src1_sel:WORD_1
	v_mul_f16_sdwa v2, v134, v111 dst_sel:DWORD dst_unused:UNUSED_PAD src0_sel:DWORD src1_sel:WORD_1
	v_fma_f16 v1, v134, v111, -v1
	v_fmac_f16_e32 v2, v0, v111
	v_mad_u16 v0, 0x78, v150, v158
	v_sub_f16_e32 v1, v135, v1
	v_sub_f16_e32 v2, v3, v2
	v_lshlrev_b32_sdwa v0, v27, v0 dst_sel:DWORD dst_unused:UNUSED_PAD src0_sel:DWORD src1_sel:WORD_0
	v_fma_f16 v4, v135, 2.0, -v1
	v_fma_f16 v3, v3, 2.0, -v2
	v_pack_b32_f16 v1, v1, v2
	buffer_store_dword v0, off, s[20:23], 0 offset:36 ; 4-byte Folded Spill
	v_lshrrev_b32_e32 v2, 16, v136
	v_pack_b32_f16 v3, v4, v3
	v_mad_u16 v4, 0x78, v159, v160
	ds_write2_b32 v0, v3, v1 offset1:60
	v_lshrrev_b32_e32 v0, 16, v137
	v_mul_f16_sdwa v1, v137, v109 dst_sel:DWORD dst_unused:UNUSED_PAD src0_sel:DWORD src1_sel:WORD_1
	v_fmac_f16_e32 v1, v0, v109
	v_mul_f16_sdwa v0, v0, v109 dst_sel:DWORD dst_unused:UNUSED_PAD src0_sel:DWORD src1_sel:WORD_1
	v_sub_f16_e32 v1, v2, v1
	v_fma_f16 v0, v137, v109, -v0
	v_fma_f16 v2, v2, 2.0, -v1
	v_sub_f16_e32 v0, v136, v0
	v_fma_f16 v3, v136, 2.0, -v0
	v_pack_b32_f16 v0, v0, v1
	v_lshlrev_b32_sdwa v1, v27, v4 dst_sel:DWORD dst_unused:UNUSED_PAD src0_sel:DWORD src1_sel:WORD_0
	v_pack_b32_f16 v2, v3, v2
	v_lshrrev_b32_e32 v3, 16, v139
	buffer_store_dword v1, off, s[20:23], 0 offset:40 ; 4-byte Folded Spill
	ds_write2_b32 v1, v2, v0 offset1:60
	v_lshrrev_b32_e32 v0, 16, v138
	v_mul_f16_sdwa v2, v138, v106 dst_sel:DWORD dst_unused:UNUSED_PAD src0_sel:DWORD src1_sel:WORD_1
	v_mul_f16_sdwa v1, v0, v106 dst_sel:DWORD dst_unused:UNUSED_PAD src0_sel:DWORD src1_sel:WORD_1
	v_fmac_f16_e32 v2, v0, v106
	v_mad_u16 v0, 0x78, v161, v162
	v_fma_f16 v1, v138, v106, -v1
	v_sub_f16_e32 v2, v3, v2
	v_lshlrev_b32_sdwa v0, v27, v0 dst_sel:DWORD dst_unused:UNUSED_PAD src0_sel:DWORD src1_sel:WORD_0
	v_sub_f16_e32 v1, v139, v1
	v_fma_f16 v3, v3, 2.0, -v2
	buffer_store_dword v0, off, s[20:23], 0 offset:44 ; 4-byte Folded Spill
	v_fma_f16 v4, v139, 2.0, -v1
	v_pack_b32_f16 v1, v1, v2
	v_lshrrev_b32_e32 v2, 16, v140
	v_pack_b32_f16 v3, v4, v3
	v_mad_u16 v4, 0x78, v163, v164
	ds_write2_b32 v0, v3, v1 offset1:60
	v_lshrrev_b32_e32 v0, 16, v141
	v_mul_f16_sdwa v1, v141, v104 dst_sel:DWORD dst_unused:UNUSED_PAD src0_sel:DWORD src1_sel:WORD_1
	v_fmac_f16_e32 v1, v0, v104
	v_mul_f16_sdwa v0, v0, v104 dst_sel:DWORD dst_unused:UNUSED_PAD src0_sel:DWORD src1_sel:WORD_1
	v_sub_f16_e32 v1, v2, v1
	v_fma_f16 v0, v141, v104, -v0
	v_fma_f16 v2, v2, 2.0, -v1
	v_sub_f16_e32 v0, v140, v0
	v_fma_f16 v3, v140, 2.0, -v0
	v_pack_b32_f16 v0, v0, v1
	v_lshlrev_b32_sdwa v1, v27, v4 dst_sel:DWORD dst_unused:UNUSED_PAD src0_sel:DWORD src1_sel:WORD_0
	v_pack_b32_f16 v2, v3, v2
	v_lshrrev_b32_e32 v3, 16, v143
	buffer_store_dword v1, off, s[20:23], 0 offset:48 ; 4-byte Folded Spill
	ds_write2_b32 v1, v2, v0 offset1:60
	v_lshrrev_b32_e32 v0, 16, v142
	v_mul_f16_sdwa v2, v142, v103 dst_sel:DWORD dst_unused:UNUSED_PAD src0_sel:DWORD src1_sel:WORD_1
	v_mul_f16_sdwa v1, v0, v103 dst_sel:DWORD dst_unused:UNUSED_PAD src0_sel:DWORD src1_sel:WORD_1
	v_fmac_f16_e32 v2, v0, v103
	v_mad_u16 v0, 0x78, v165, v178
	v_fma_f16 v1, v142, v103, -v1
	v_sub_f16_e32 v2, v3, v2
	v_lshlrev_b32_sdwa v0, v27, v0 dst_sel:DWORD dst_unused:UNUSED_PAD src0_sel:DWORD src1_sel:WORD_0
	v_sub_f16_e32 v1, v143, v1
	v_fma_f16 v3, v3, 2.0, -v2
	buffer_store_dword v0, off, s[20:23], 0 offset:52 ; 4-byte Folded Spill
	v_fma_f16 v4, v143, 2.0, -v1
	v_pack_b32_f16 v1, v1, v2
	v_lshrrev_b32_e32 v2, 16, v144
	v_pack_b32_f16 v3, v4, v3
	v_mad_u16 v4, 0x78, v179, v181
	ds_write2_b32 v0, v3, v1 offset1:60
	v_lshrrev_b32_e32 v0, 16, v145
	v_mul_f16_sdwa v1, v145, v101 dst_sel:DWORD dst_unused:UNUSED_PAD src0_sel:DWORD src1_sel:WORD_1
	v_fmac_f16_e32 v1, v0, v101
	v_mul_f16_sdwa v0, v0, v101 dst_sel:DWORD dst_unused:UNUSED_PAD src0_sel:DWORD src1_sel:WORD_1
	v_sub_f16_e32 v1, v2, v1
	v_fma_f16 v0, v145, v101, -v0
	v_fma_f16 v2, v2, 2.0, -v1
	v_sub_f16_e32 v0, v144, v0
	v_fma_f16 v3, v144, 2.0, -v0
	v_pack_b32_f16 v0, v0, v1
	v_lshlrev_b32_sdwa v1, v27, v4 dst_sel:DWORD dst_unused:UNUSED_PAD src0_sel:DWORD src1_sel:WORD_0
	v_mad_u16 v4, 0x78, v182, v183
	v_pack_b32_f16 v2, v3, v2
	buffer_store_dword v1, off, s[20:23], 0 offset:56 ; 4-byte Folded Spill
	ds_write2_b32 v1, v2, v0 offset1:60
	v_lshrrev_b32_e32 v0, 16, v146
	v_mul_f16_sdwa v2, v146, v100 dst_sel:DWORD dst_unused:UNUSED_PAD src0_sel:DWORD src1_sel:WORD_1
	v_mul_f16_sdwa v1, v0, v100 dst_sel:DWORD dst_unused:UNUSED_PAD src0_sel:DWORD src1_sel:WORD_1
	v_fmac_f16_e32 v2, v0, v100
	v_fma_f16 v1, v146, v100, -v1
	v_sub_f16_e32 v0, v130, v1
	v_lshrrev_b32_e32 v1, 16, v130
	v_fma_f16 v3, v130, 2.0, -v0
	v_sub_f16_e32 v2, v1, v2
	v_fma_f16 v1, v1, 2.0, -v2
	v_pack_b32_f16 v0, v0, v2
	v_lshlrev_b32_sdwa v2, v27, v4 dst_sel:DWORD dst_unused:UNUSED_PAD src0_sel:DWORD src1_sel:WORD_0
	v_pack_b32_f16 v1, v3, v1
	buffer_store_dword v2, off, s[20:23], 0 offset:60 ; 4-byte Folded Spill
	ds_write2_b32 v2, v1, v0 offset1:60
	v_add_co_u32 v0, s0, 0xffffff88, v217
	v_add_co_ci_u32_e64 v1, null, 0, -1, s0
	s_waitcnt lgkmcnt(0)
	s_waitcnt_vscnt null, 0x0
	v_cndmask_b32_e32 v131, v0, v217, vcc_lo
	s_barrier
	v_cndmask_b32_e64 v132, v1, 0, vcc_lo
	buffer_gl0_inv
	v_lshrrev_b16 v2, 14, v24
	ds_read2st64_b32 v[178:179], v50 offset0:28 offset1:30
	v_mul_lo_u16 v24, 0x78, v12
	v_lshlrev_b64 v[132:133], 2, v[131:132]
	ds_read2st64_b32 v[149:150], v50 offset1:2
	v_mul_lo_u16 v3, 0x78, v2
	v_sub_nc_u16 v24, v22, v24
	v_add_co_u32 v132, vcc_lo, s2, v132
	v_add_co_ci_u32_e32 v133, vcc_lo, s3, v133, vcc_lo
	v_sub_nc_u16 v3, v23, v3
	v_cmp_lt_u32_e32 vcc_lo, 0x77, v217
	global_load_dword v146, v[132:133], off offset:440
	v_and_b32_e32 v3, 0xff, v3
	v_cndmask_b32_e64 v0, 0, 0xf0, vcc_lo
	v_lshlrev_b32_e32 v4, 2, v3
	v_add_lshl_u32 v134, v131, v0, 2
	v_mul_u32_u24_e32 v0, 0x223, v30
	s_waitcnt lgkmcnt(0)
	v_lshrrev_b32_e32 v117, 16, v149
	v_lshrrev_b32_e32 v127, 16, v150
	global_load_dword v143, v4, s[2:3] offset:440
	v_lshrrev_b32_e32 v0, 16, v0
	v_mul_lo_u16 v1, 0x78, v0
	v_sub_nc_u16 v1, v30, v1
	v_mul_u32_u24_e32 v30, 0x223, v25
	v_lshlrev_b32_sdwa v8, v27, v1 dst_sel:DWORD dst_unused:UNUSED_PAD src0_sel:DWORD src1_sel:WORD_0
	v_mad_u16 v0, 0xf0, v0, v1
	global_load_dword v144, v8, s[2:3] offset:440
	v_lshrrev_b32_e32 v4, 16, v30
	v_lshrrev_b32_e32 v8, 17, v172
	v_mul_lo_u16 v5, 0x78, v4
	v_mul_lo_u16 v9, 0x78, v8
	v_sub_nc_u16 v5, v25, v5
	v_sub_nc_u16 v9, v169, v9
	v_lshlrev_b32_sdwa v26, v27, v5 dst_sel:DWORD dst_unused:UNUSED_PAD src0_sel:DWORD src1_sel:WORD_0
	v_mad_u16 v4, 0xf0, v4, v5
	global_load_dword v145, v26, s[2:3] offset:440
	v_lshlrev_b32_sdwa v26, v27, v7 dst_sel:DWORD dst_unused:UNUSED_PAD src0_sel:DWORD src1_sel:WORD_0
	global_load_dword v142, v26, s[2:3] offset:440
	v_lshlrev_b32_sdwa v26, v27, v9 dst_sel:DWORD dst_unused:UNUSED_PAD src0_sel:DWORD src1_sel:WORD_0
	;; [unrolled: 2-line block ×4, first 2 shown]
	global_load_dword v136, v26, s[2:3] offset:440
	v_lshrrev_b32_e32 v26, 16, v179
	s_waitcnt vmcnt(7)
	v_mul_f16_sdwa v102, v179, v146 dst_sel:DWORD dst_unused:UNUSED_PAD src0_sel:DWORD src1_sel:WORD_1
	v_fmac_f16_e32 v102, v26, v146
	v_mul_f16_sdwa v26, v26, v146 dst_sel:DWORD dst_unused:UNUSED_PAD src0_sel:DWORD src1_sel:WORD_1
	v_sub_f16_e32 v102, v117, v102
	v_fma_f16 v26, v179, v146, -v26
	v_lshrrev_b32_e32 v179, 18, v174
	v_fma_f16 v117, v117, 2.0, -v102
	v_sub_f16_e32 v26, v149, v26
	v_mul_lo_u16 v126, 0x78, v179
	v_fma_f16 v118, v149, 2.0, -v26
	v_pack_b32_f16 v26, v26, v102
	v_lshrrev_b32_e32 v102, 18, v180
	v_sub_nc_u16 v199, v148, v126
	v_mul_lo_u16 v126, 0x78, v200
	v_pack_b32_f16 v117, v118, v117
	v_lshlrev_b32_sdwa v149, v27, v0 dst_sel:DWORD dst_unused:UNUSED_PAD src0_sel:DWORD src1_sel:WORD_0
	v_mul_lo_u16 v118, 0x78, v102
	v_sub_nc_u16 v201, v151, v126
	v_mul_lo_u16 v126, 0x78, v202
	v_sub_nc_u16 v118, v157, v118
	v_sub_nc_u16 v203, v166, v126
	v_lshlrev_b32_sdwa v126, v27, v118 dst_sel:DWORD dst_unused:UNUSED_PAD src0_sel:DWORD src1_sel:WORD_0
	global_load_dword v141, v126, s[2:3] offset:440
	v_lshlrev_b32_sdwa v126, v27, v120 dst_sel:DWORD dst_unused:UNUSED_PAD src0_sel:DWORD src1_sel:WORD_0
	global_load_dword v139, v126, s[2:3] offset:440
	;; [unrolled: 2-line block ×7, first 2 shown]
	ds_read2st64_b32 v[158:159], v50 offset0:32 offset1:34
	ds_read2st64_b32 v[160:161], v50 offset0:4 offset1:6
	;; [unrolled: 1-line block ×13, first 2 shown]
	s_waitcnt vmcnt(0) lgkmcnt(0)
	s_barrier
	buffer_gl0_inv
	ds_write2_b32 v134, v117, v26 offset1:120
	v_mov_b32_e32 v26, 0xf0
	v_mul_f16_sdwa v117, v158, v143 dst_sel:DWORD dst_unused:UNUSED_PAD src0_sel:DWORD src1_sel:WORD_1
	v_lshrrev_b32_e32 v1, 16, v160
	v_mul_u32_u24_sdwa v2, v2, v26 dst_sel:DWORD dst_unused:UNUSED_PAD src0_sel:WORD_0 src1_sel:DWORD
	v_lshrrev_b32_e32 v26, 16, v158
	v_lshrrev_b32_e32 v0, 16, v162
	v_add_lshl_u32 v130, v2, v3, 2
	v_fmac_f16_e32 v117, v26, v143
	v_mul_f16_sdwa v26, v26, v143 dst_sel:DWORD dst_unused:UNUSED_PAD src0_sel:DWORD src1_sel:WORD_1
	v_sub_f16_e32 v2, v127, v117
	v_fma_f16 v26, v158, v143, -v26
	v_fma_f16 v3, v127, 2.0, -v2
	v_sub_f16_e32 v26, v150, v26
	v_fma_f16 v128, v150, 2.0, -v26
	v_pack_b32_f16 v2, v26, v2
	v_mul_f16_sdwa v26, v159, v144 dst_sel:DWORD dst_unused:UNUSED_PAD src0_sel:DWORD src1_sel:WORD_1
	v_lshlrev_b32_sdwa v150, v27, v4 dst_sel:DWORD dst_unused:UNUSED_PAD src0_sel:DWORD src1_sel:WORD_0
	v_pack_b32_f16 v3, v128, v3
	ds_write2_b32 v130, v3, v2 offset1:120
	v_lshrrev_b32_e32 v2, 16, v159
	v_mul_f16_sdwa v3, v2, v144 dst_sel:DWORD dst_unused:UNUSED_PAD src0_sel:DWORD src1_sel:WORD_1
	v_fmac_f16_e32 v26, v2, v144
	v_fma_f16 v3, v159, v144, -v3
	v_sub_f16_e32 v2, v1, v26
	v_sub_f16_e32 v3, v160, v3
	v_fma_f16 v1, v1, 2.0, -v2
	v_fma_f16 v26, v160, 2.0, -v3
	v_pack_b32_f16 v2, v3, v2
	v_pack_b32_f16 v1, v26, v1
	v_mov_b32_e32 v26, 0
	ds_write2_b32 v149, v1, v2 offset1:120
	v_mul_f16_sdwa v1, v162, v145 dst_sel:DWORD dst_unused:UNUSED_PAD src0_sel:DWORD src1_sel:WORD_1
	v_lshrrev_b32_e32 v2, 16, v161
	v_fmac_f16_e32 v1, v0, v145
	v_mul_f16_sdwa v0, v0, v145 dst_sel:DWORD dst_unused:UNUSED_PAD src0_sel:DWORD src1_sel:WORD_1
	v_sub_f16_e32 v1, v2, v1
	v_fma_f16 v0, v162, v145, -v0
	v_fma_f16 v2, v2, 2.0, -v1
	v_sub_f16_e32 v0, v161, v0
	v_fma_f16 v3, v161, 2.0, -v0
	v_pack_b32_f16 v0, v0, v1
	v_pack_b32_f16 v2, v3, v2
	v_lshrrev_b32_e32 v3, 16, v164
	ds_write2_b32 v150, v2, v0 offset1:120
	v_lshrrev_b32_e32 v0, 16, v163
	v_mul_f16_sdwa v2, v163, v142 dst_sel:DWORD dst_unused:UNUSED_PAD src0_sel:DWORD src1_sel:WORD_1
	v_mul_f16_sdwa v1, v0, v142 dst_sel:DWORD dst_unused:UNUSED_PAD src0_sel:DWORD src1_sel:WORD_1
	v_fmac_f16_e32 v2, v0, v142
	v_mad_u16 v0, 0xf0, v6, v7
	v_fma_f16 v1, v163, v142, -v1
	v_sub_f16_e32 v2, v3, v2
	v_lshlrev_b32_sdwa v127, v27, v0 dst_sel:DWORD dst_unused:UNUSED_PAD src0_sel:DWORD src1_sel:WORD_0
	v_lshrrev_b32_e32 v0, 16, v181
	v_sub_f16_e32 v1, v164, v1
	v_fma_f16 v3, v3, 2.0, -v2
	v_fma_f16 v4, v164, 2.0, -v1
	v_pack_b32_f16 v1, v1, v2
	v_lshrrev_b32_e32 v2, 16, v165
	v_pack_b32_f16 v3, v4, v3
	v_mad_u16 v4, 0xf0, v8, v9
	ds_write2_b32 v127, v3, v1 offset1:120
	v_mul_f16_sdwa v1, v181, v140 dst_sel:DWORD dst_unused:UNUSED_PAD src0_sel:DWORD src1_sel:WORD_1
	v_lshlrev_b32_sdwa v128, v27, v4 dst_sel:DWORD dst_unused:UNUSED_PAD src0_sel:DWORD src1_sel:WORD_0
	v_fmac_f16_e32 v1, v0, v140
	v_mul_f16_sdwa v0, v0, v140 dst_sel:DWORD dst_unused:UNUSED_PAD src0_sel:DWORD src1_sel:WORD_1
	v_sub_f16_e32 v1, v2, v1
	v_fma_f16 v0, v181, v140, -v0
	v_fma_f16 v2, v2, 2.0, -v1
	v_sub_f16_e32 v0, v165, v0
	v_fma_f16 v3, v165, 2.0, -v0
	v_pack_b32_f16 v0, v0, v1
	v_pack_b32_f16 v2, v3, v2
	v_lshrrev_b32_e32 v3, 16, v183
	ds_write2_b32 v128, v2, v0 offset1:120
	v_lshrrev_b32_e32 v0, 16, v182
	v_mul_f16_sdwa v2, v182, v138 dst_sel:DWORD dst_unused:UNUSED_PAD src0_sel:DWORD src1_sel:WORD_1
	v_mul_f16_sdwa v1, v0, v138 dst_sel:DWORD dst_unused:UNUSED_PAD src0_sel:DWORD src1_sel:WORD_1
	v_fmac_f16_e32 v2, v0, v138
	v_mad_u16 v0, 0xf0, v10, v11
	v_lshrrev_b32_e32 v11, 19, v176
	v_fma_f16 v1, v182, v138, -v1
	v_sub_f16_e32 v2, v3, v2
	v_lshlrev_b32_sdwa v158, v27, v0 dst_sel:DWORD dst_unused:UNUSED_PAD src0_sel:DWORD src1_sel:WORD_0
	v_lshrrev_b32_e32 v0, 16, v185
	v_mul_lo_u16 v11, 0xf0, v11
	v_sub_f16_e32 v1, v183, v1
	v_fma_f16 v3, v3, 2.0, -v2
	v_sub_nc_u16 v11, v156, v11
	v_fma_f16 v4, v183, 2.0, -v1
	v_pack_b32_f16 v1, v1, v2
	v_lshrrev_b32_e32 v2, 16, v184
	v_lshlrev_b32_sdwa v11, v27, v11 dst_sel:DWORD dst_unused:UNUSED_PAD src0_sel:DWORD src1_sel:WORD_0
	v_pack_b32_f16 v3, v4, v3
	v_mad_u16 v4, 0xf0, v12, v24
	v_mov_b32_e32 v24, v26
	ds_write2_b32 v158, v3, v1 offset1:120
	v_mul_f16_sdwa v1, v185, v136 dst_sel:DWORD dst_unused:UNUSED_PAD src0_sel:DWORD src1_sel:WORD_1
	v_lshlrev_b32_sdwa v159, v27, v4 dst_sel:DWORD dst_unused:UNUSED_PAD src0_sel:DWORD src1_sel:WORD_0
	v_cmp_gt_u64_e32 vcc_lo, 0xf0, v[23:24]
	v_fmac_f16_e32 v1, v0, v136
	v_mul_f16_sdwa v0, v0, v136 dst_sel:DWORD dst_unused:UNUSED_PAD src0_sel:DWORD src1_sel:WORD_1
	v_sub_f16_e32 v1, v2, v1
	v_fma_f16 v0, v185, v136, -v0
	v_fma_f16 v2, v2, 2.0, -v1
	v_sub_f16_e32 v0, v184, v0
	v_fma_f16 v3, v184, 2.0, -v0
	v_pack_b32_f16 v0, v0, v1
	v_pack_b32_f16 v2, v3, v2
	v_lshrrev_b32_e32 v3, 16, v187
	ds_write2_b32 v159, v2, v0 offset1:120
	v_lshrrev_b32_e32 v0, 16, v186
	v_mul_f16_sdwa v1, v0, v141 dst_sel:DWORD dst_unused:UNUSED_PAD src0_sel:DWORD src1_sel:WORD_1
	v_mul_f16_sdwa v2, v186, v141 dst_sel:DWORD dst_unused:UNUSED_PAD src0_sel:DWORD src1_sel:WORD_1
	v_fma_f16 v1, v186, v141, -v1
	v_fmac_f16_e32 v2, v0, v141
	v_mad_u16 v0, 0xf0, v102, v118
	v_lshrrev_b32_e32 v102, 19, v174
	v_sub_f16_e32 v1, v187, v1
	v_sub_f16_e32 v2, v3, v2
	v_lshlrev_b32_sdwa v160, v27, v0 dst_sel:DWORD dst_unused:UNUSED_PAD src0_sel:DWORD src1_sel:WORD_0
	v_lshrrev_b32_e32 v0, 16, v189
	v_mul_lo_u16 v102, 0xf0, v102
	v_fma_f16 v4, v187, 2.0, -v1
	v_fma_f16 v3, v3, 2.0, -v2
	v_pack_b32_f16 v1, v1, v2
	v_lshrrev_b32_e32 v2, 16, v188
	v_sub_nc_u16 v102, v148, v102
	v_pack_b32_f16 v3, v4, v3
	v_mad_u16 v4, 0xf0, v119, v120
	v_lshlrev_b32_sdwa v215, v27, v102 dst_sel:DWORD dst_unused:UNUSED_PAD src0_sel:DWORD src1_sel:WORD_0
	ds_write2_b32 v160, v3, v1 offset1:120
	v_mul_f16_sdwa v1, v189, v139 dst_sel:DWORD dst_unused:UNUSED_PAD src0_sel:DWORD src1_sel:WORD_1
	v_lshlrev_b32_sdwa v161, v27, v4 dst_sel:DWORD dst_unused:UNUSED_PAD src0_sel:DWORD src1_sel:WORD_0
	v_fmac_f16_e32 v1, v0, v139
	v_mul_f16_sdwa v0, v0, v139 dst_sel:DWORD dst_unused:UNUSED_PAD src0_sel:DWORD src1_sel:WORD_1
	v_sub_f16_e32 v1, v2, v1
	v_fma_f16 v0, v189, v139, -v0
	v_lshrrev_b32_e32 v189, 19, v171
	v_fma_f16 v2, v2, 2.0, -v1
	v_sub_f16_e32 v0, v188, v0
	v_mul_lo_u16 v118, 0xf0, v189
	v_fma_f16 v3, v188, 2.0, -v0
	v_pack_b32_f16 v0, v0, v1
	v_pack_b32_f16 v2, v3, v2
	v_lshrrev_b32_e32 v3, 16, v191
	ds_write2_b32 v161, v2, v0 offset1:120
	v_lshrrev_b32_e32 v0, 16, v190
	v_mul_f16_sdwa v2, v190, v137 dst_sel:DWORD dst_unused:UNUSED_PAD src0_sel:DWORD src1_sel:WORD_1
	v_mul_f16_sdwa v1, v0, v137 dst_sel:DWORD dst_unused:UNUSED_PAD src0_sel:DWORD src1_sel:WORD_1
	v_fmac_f16_e32 v2, v0, v137
	v_mad_u16 v0, 0xf0, v121, v122
	v_add_nc_u32_e32 v122, 0x7c0, v50
	v_fma_f16 v1, v190, v137, -v1
	v_sub_f16_e32 v2, v3, v2
	v_lshlrev_b32_sdwa v162, v27, v0 dst_sel:DWORD dst_unused:UNUSED_PAD src0_sel:DWORD src1_sel:WORD_0
	v_lshrrev_b32_e32 v0, 16, v193
	v_sub_f16_e32 v1, v191, v1
	v_fma_f16 v3, v3, 2.0, -v2
	v_fma_f16 v4, v191, 2.0, -v1
	v_pack_b32_f16 v1, v1, v2
	v_lshrrev_b32_e32 v2, 16, v192
	v_pack_b32_f16 v3, v4, v3
	v_mad_u16 v4, 0xf0, v123, v124
	ds_write2_b32 v162, v3, v1 offset1:120
	v_mul_f16_sdwa v1, v193, v135 dst_sel:DWORD dst_unused:UNUSED_PAD src0_sel:DWORD src1_sel:WORD_1
	v_lshlrev_b32_sdwa v163, v27, v4 dst_sel:DWORD dst_unused:UNUSED_PAD src0_sel:DWORD src1_sel:WORD_0
	v_fmac_f16_e32 v1, v0, v135
	v_mul_f16_sdwa v0, v0, v135 dst_sel:DWORD dst_unused:UNUSED_PAD src0_sel:DWORD src1_sel:WORD_1
	v_sub_f16_e32 v1, v2, v1
	v_fma_f16 v0, v193, v135, -v0
	v_fma_f16 v2, v2, 2.0, -v1
	v_sub_f16_e32 v0, v192, v0
	v_fma_f16 v3, v192, 2.0, -v0
	v_pack_b32_f16 v0, v0, v1
	v_pack_b32_f16 v2, v3, v2
	v_lshrrev_b32_e32 v3, 16, v195
	ds_write2_b32 v163, v2, v0 offset1:120
	v_lshrrev_b32_e32 v0, 16, v194
	v_mul_f16_sdwa v2, v194, v133 dst_sel:DWORD dst_unused:UNUSED_PAD src0_sel:DWORD src1_sel:WORD_1
	v_mul_f16_sdwa v1, v0, v133 dst_sel:DWORD dst_unused:UNUSED_PAD src0_sel:DWORD src1_sel:WORD_1
	v_fmac_f16_e32 v2, v0, v133
	v_mad_u16 v0, 0xf0, v179, v199
	v_fma_f16 v1, v194, v133, -v1
	v_sub_f16_e32 v2, v3, v2
	v_lshlrev_b32_sdwa v164, v27, v0 dst_sel:DWORD dst_unused:UNUSED_PAD src0_sel:DWORD src1_sel:WORD_0
	v_lshrrev_b32_e32 v0, 16, v197
	v_sub_f16_e32 v1, v195, v1
	v_fma_f16 v3, v3, 2.0, -v2
	v_fma_f16 v4, v195, 2.0, -v1
	v_pack_b32_f16 v1, v1, v2
	v_lshrrev_b32_e32 v2, 16, v196
	v_pack_b32_f16 v3, v4, v3
	v_mad_u16 v4, 0xf0, v200, v201
	v_sub_nc_u16 v201, v151, v118
	ds_write2_b32 v164, v3, v1 offset1:120
	v_mul_f16_sdwa v1, v197, v132 dst_sel:DWORD dst_unused:UNUSED_PAD src0_sel:DWORD src1_sel:WORD_1
	v_lshlrev_b32_sdwa v165, v27, v4 dst_sel:DWORD dst_unused:UNUSED_PAD src0_sel:DWORD src1_sel:WORD_0
	v_mad_u16 v4, 0xf0, v202, v203
	v_fmac_f16_e32 v1, v0, v132
	v_mul_f16_sdwa v0, v0, v132 dst_sel:DWORD dst_unused:UNUSED_PAD src0_sel:DWORD src1_sel:WORD_1
	v_sub_f16_e32 v1, v2, v1
	v_fma_f16 v0, v197, v132, -v0
	v_fma_f16 v2, v2, 2.0, -v1
	v_sub_f16_e32 v0, v196, v0
	v_fma_f16 v3, v196, 2.0, -v0
	v_pack_b32_f16 v0, v0, v1
	v_pack_b32_f16 v2, v3, v2
	ds_write2_b32 v165, v2, v0 offset1:120
	v_add_co_u32 v0, s0, 0xffffff90, v217
	v_add_co_ci_u32_e64 v1, null, 0, -1, s0
	v_mul_f16_sdwa v2, v198, v131 dst_sel:DWORD dst_unused:UNUSED_PAD src0_sel:DWORD src1_sel:WORD_1
	v_cndmask_b32_e32 v182, v0, v23, vcc_lo
	v_lshrrev_b32_e32 v0, 16, v198
	v_cndmask_b32_e64 v183, v1, 0, vcc_lo
	v_mul_f16_sdwa v1, v0, v131 dst_sel:DWORD dst_unused:UNUSED_PAD src0_sel:DWORD src1_sel:WORD_1
	v_fmac_f16_e32 v2, v0, v131
	v_lshlrev_b64 v[183:184], 2, v[182:183]
	v_fma_f16 v1, v198, v131, -v1
	v_add_co_u32 v183, vcc_lo, s2, v183
	v_sub_f16_e32 v0, v178, v1
	v_lshrrev_b32_e32 v1, 16, v178
	v_add_co_ci_u32_e32 v184, vcc_lo, s3, v184, vcc_lo
	v_cmp_lt_u64_e32 vcc_lo, 0xef, v[23:24]
	v_fma_f16 v3, v178, 2.0, -v0
	v_sub_f16_e32 v2, v1, v2
	v_lshlrev_b32_sdwa v178, v27, v4 dst_sel:DWORD dst_unused:UNUSED_PAD src0_sel:DWORD src1_sel:WORD_0
	v_lshrrev_b32_e32 v4, 17, v30
	v_fma_f16 v1, v1, 2.0, -v2
	v_pack_b32_f16 v0, v0, v2
	v_mul_lo_u16 v5, 0xf0, v4
	v_pack_b32_f16 v1, v3, v1
	v_lshrrev_b32_e32 v3, 18, v173
	v_sub_nc_u16 v5, v25, v5
	ds_write2_b32 v178, v1, v0 offset1:120
	v_lshrrev_b32_e32 v0, 18, v170
	v_mul_lo_u16 v3, 0xf0, v3
	v_lshlrev_b32_sdwa v6, v27, v5 dst_sel:DWORD dst_unused:UNUSED_PAD src0_sel:DWORD src1_sel:WORD_0
	s_waitcnt lgkmcnt(0)
	s_barrier
	v_mul_lo_u16 v0, 0xf0, v0
	v_sub_nc_u16 v3, v153, v3
	buffer_gl0_inv
	global_load_dword v191, v[183:184], off offset:920
	v_lshrrev_b32_e32 v1, 18, v172
	v_sub_nc_u16 v0, v168, v0
	v_lshlrev_b32_sdwa v3, v27, v3 dst_sel:DWORD dst_unused:UNUSED_PAD src0_sel:DWORD src1_sel:WORD_0
	v_lshrrev_b32_e32 v153, 19, v175
	v_mad_u16 v4, 0x1e0, v4, v5
	v_mul_lo_u16 v2, 0xf0, v1
	v_lshlrev_b32_sdwa v0, v27, v0 dst_sel:DWORD dst_unused:UNUSED_PAD src0_sel:DWORD src1_sel:WORD_0
	s_clause 0x4
	global_load_dword v196, v6, s[2:3] offset:920
	global_load_dword v240, v50, s[2:3] offset:920
	;; [unrolled: 1-line block ×5, first 2 shown]
	ds_read2st64_b32 v[183:184], v50 offset1:2
	v_sub_nc_u16 v2, v169, v2
	ds_read2st64_b32 v[168:169], v50 offset0:28 offset1:30
	v_mul_lo_u16 v117, 0xf0, v153
	v_lshlrev_b32_sdwa v123, v27, v4 dst_sel:DWORD dst_unused:UNUSED_PAD src0_sel:DWORD src1_sel:WORD_0
	v_add_nc_u32_e32 v121, 0xf00, v0
	v_mad_u16 v1, 0x1e0, v1, v2
	v_add_nc_u32_e32 v119, 0x1680, v3
	v_sub_nc_u16 v179, v167, v117
	v_lshrrev_b32_e32 v117, 19, v29
	v_lshlrev_b32_sdwa v120, v27, v1 dst_sel:DWORD dst_unused:UNUSED_PAD src0_sel:DWORD src1_sel:WORD_0
	v_lshlrev_b32_sdwa v118, v27, v179 dst_sel:DWORD dst_unused:UNUSED_PAD src0_sel:DWORD src1_sel:WORD_0
	v_mul_lo_u16 v117, 0xf0, v117
	global_load_dword v173, v118, s[2:3] offset:920
	v_sub_nc_u16 v117, v166, v117
	s_waitcnt lgkmcnt(1)
	v_lshrrev_b32_e32 v8, 16, v183
	v_lshrrev_b32_e32 v23, 16, v184
	s_waitcnt lgkmcnt(0)
	v_lshrrev_b32_e32 v6, 16, v169
	v_lshlrev_b32_sdwa v224, v27, v117 dst_sel:DWORD dst_unused:UNUSED_PAD src0_sel:DWORD src1_sel:WORD_0
	v_add_nc_u32_e32 v117, 0x3480, v224
	s_waitcnt vmcnt(4)
	v_mul_f16_sdwa v7, v169, v240 dst_sel:DWORD dst_unused:UNUSED_PAD src0_sel:DWORD src1_sel:WORD_1
	v_fmac_f16_e32 v7, v6, v240
	v_mul_f16_sdwa v6, v6, v240 dst_sel:DWORD dst_unused:UNUSED_PAD src0_sel:DWORD src1_sel:WORD_1
	v_sub_f16_e32 v7, v8, v7
	v_fma_f16 v6, v169, v240, -v6
	v_fma_f16 v8, v8, 2.0, -v7
	v_sub_f16_e32 v6, v183, v6
	v_fma_f16 v9, v183, 2.0, -v6
	v_pack_b32_f16 v6, v6, v7
	v_lshlrev_b32_sdwa v7, v27, v2 dst_sel:DWORD dst_unused:UNUSED_PAD src0_sel:DWORD src1_sel:WORD_0
	v_pack_b32_f16 v8, v9, v8
	v_lshrrev_b32_e32 v9, 18, v28
	global_load_dword v199, v7, s[2:3] offset:920
	v_mul_lo_u16 v10, 0xf0, v9
	v_sub_nc_u16 v10, v22, v10
	v_lshlrev_b32_sdwa v12, v27, v10 dst_sel:DWORD dst_unused:UNUSED_PAD src0_sel:DWORD src1_sel:WORD_0
	global_load_dword v197, v12, s[2:3] offset:920
	v_lshrrev_b32_e32 v12, 19, v177
	v_lshrrev_b32_e32 v7, 19, v180
	v_mul_lo_u16 v30, 0xf0, v12
	v_mul_lo_u16 v7, 0xf0, v7
	v_sub_nc_u16 v30, v154, v30
	v_sub_nc_u16 v7, v157, v7
	v_lshlrev_b32_sdwa v102, v27, v30 dst_sel:DWORD dst_unused:UNUSED_PAD src0_sel:DWORD src1_sel:WORD_0
	v_lshlrev_b32_sdwa v7, v27, v7 dst_sel:DWORD dst_unused:UNUSED_PAD src0_sel:DWORD src1_sel:WORD_0
	global_load_dword v183, v102, s[2:3] offset:920
	v_lshlrev_b32_sdwa v102, v27, v201 dst_sel:DWORD dst_unused:UNUSED_PAD src0_sel:DWORD src1_sel:WORD_0
	s_clause 0x4
	global_load_dword v170, v102, s[2:3] offset:920
	global_load_dword v169, v224, s[2:3] offset:920
	;; [unrolled: 1-line block ×5, first 2 shown]
	ds_read2st64_b32 v[185:186], v50 offset0:32 offset1:34
	ds_read2st64_b32 v[187:188], v50 offset0:4 offset1:6
	;; [unrolled: 1-line block ×13, first 2 shown]
	s_waitcnt vmcnt(0) lgkmcnt(0)
	s_barrier
	buffer_gl0_inv
	ds_write2_b32 v50, v8, v6 offset1:240
	v_cndmask_b32_e64 v6, 0, 0x1e0, vcc_lo
	v_add_nc_u32_e32 v126, 0x1e00, v7
	v_cmp_gt_u64_e32 vcc_lo, 0x1e0, v[25:26]
	v_mul_f16_sdwa v8, v185, v191 dst_sel:DWORD dst_unused:UNUSED_PAD src0_sel:DWORD src1_sel:WORD_1
	v_lshrrev_b32_e32 v7, 20, v29
	v_add_lshl_u32 v124, v6, v182, 2
	v_lshrrev_b32_e32 v6, 16, v185
	v_lshrrev_b32_e32 v4, 16, v193
	;; [unrolled: 1-line block ×3, first 2 shown]
	v_mul_lo_u16 v7, 0x1e0, v7
	v_add_nc_u32_e32 v102, 0x400, v50
	v_fmac_f16_e32 v8, v6, v191
	v_mul_f16_sdwa v6, v6, v191 dst_sel:DWORD dst_unused:UNUSED_PAD src0_sel:DWORD src1_sel:WORD_1
	v_sub_nc_u16 v7, v166, v7
	v_sub_f16_e32 v8, v23, v8
	v_fma_f16 v6, v185, v191, -v6
	v_fma_f16 v23, v23, 2.0, -v8
	v_sub_f16_e32 v6, v184, v6
	v_fma_f16 v24, v184, 2.0, -v6
	v_pack_b32_f16 v6, v6, v8
	v_pack_b32_f16 v23, v24, v23
	ds_write2_b32 v124, v23, v6 offset1:240
	v_lshrrev_b32_e32 v6, 16, v186
	v_mul_f16_sdwa v23, v186, v202 dst_sel:DWORD dst_unused:UNUSED_PAD src0_sel:DWORD src1_sel:WORD_1
	v_mul_f16_sdwa v8, v6, v202 dst_sel:DWORD dst_unused:UNUSED_PAD src0_sel:DWORD src1_sel:WORD_1
	v_fmac_f16_e32 v23, v6, v202
	v_lshrrev_b32_e32 v6, 16, v187
	v_fma_f16 v8, v186, v202, -v8
	v_sub_f16_e32 v23, v6, v23
	v_sub_f16_e32 v8, v187, v8
	v_fma_f16 v6, v6, 2.0, -v23
	v_fma_f16 v24, v187, 2.0, -v8
	v_pack_b32_f16 v8, v8, v23
	v_lshrrev_b32_e32 v23, 16, v188
	v_pack_b32_f16 v6, v24, v6
	ds_write2_b32 v122, v6, v8 offset1:240
	v_lshrrev_b32_e32 v6, 16, v192
	v_mul_f16_sdwa v8, v192, v196 dst_sel:DWORD dst_unused:UNUSED_PAD src0_sel:DWORD src1_sel:WORD_1
	v_fmac_f16_e32 v8, v6, v196
	v_mul_f16_sdwa v6, v6, v196 dst_sel:DWORD dst_unused:UNUSED_PAD src0_sel:DWORD src1_sel:WORD_1
	v_sub_f16_e32 v5, v23, v8
	v_fma_f16 v6, v192, v196, -v6
	v_fma_f16 v8, v23, 2.0, -v5
	v_sub_f16_e32 v6, v188, v6
	v_fma_f16 v24, v188, 2.0, -v6
	v_pack_b32_f16 v5, v6, v5
	v_mul_f16_sdwa v6, v193, v198 dst_sel:DWORD dst_unused:UNUSED_PAD src0_sel:DWORD src1_sel:WORD_1
	v_pack_b32_f16 v8, v24, v8
	v_fmac_f16_e32 v6, v4, v198
	ds_write2_b32 v123, v8, v5 offset1:240
	v_mul_f16_sdwa v5, v4, v198 dst_sel:DWORD dst_unused:UNUSED_PAD src0_sel:DWORD src1_sel:WORD_1
	v_lshrrev_b32_e32 v4, 16, v194
	v_fma_f16 v5, v193, v198, -v5
	v_sub_f16_e32 v6, v4, v6
	v_sub_f16_e32 v5, v194, v5
	v_fma_f16 v4, v4, 2.0, -v6
	v_fma_f16 v8, v194, 2.0, -v5
	v_pack_b32_f16 v5, v5, v6
	v_pack_b32_f16 v4, v8, v4
	v_lshrrev_b32_e32 v8, 19, v28
	ds_write2_b32 v121, v4, v5 offset1:240
	v_lshrrev_b32_e32 v5, 16, v195
	v_mul_f16_sdwa v4, v203, v199 dst_sel:DWORD dst_unused:UNUSED_PAD src0_sel:DWORD src1_sel:WORD_1
	v_fmac_f16_e32 v4, v0, v199
	v_mul_f16_sdwa v0, v0, v199 dst_sel:DWORD dst_unused:UNUSED_PAD src0_sel:DWORD src1_sel:WORD_1
	v_sub_f16_e32 v2, v5, v4
	v_fma_f16 v0, v203, v199, -v0
	v_fma_f16 v4, v5, 2.0, -v2
	v_sub_f16_e32 v0, v195, v0
	v_lshrrev_b32_e32 v5, 20, v174
	v_fma_f16 v6, v195, 2.0, -v0
	v_pack_b32_f16 v0, v0, v2
	v_mul_f16_sdwa v2, v204, v190 dst_sel:DWORD dst_unused:UNUSED_PAD src0_sel:DWORD src1_sel:WORD_1
	v_mul_lo_u16 v5, 0x1e0, v5
	v_pack_b32_f16 v4, v6, v4
	v_lshrrev_b32_e32 v6, 20, v171
	v_sub_nc_u16 v5, v148, v5
	ds_write2_b32 v120, v4, v0 offset1:240
	v_lshrrev_b32_e32 v0, 16, v204
	v_mul_lo_u16 v6, 0x1e0, v6
	v_mul_f16_sdwa v1, v0, v190 dst_sel:DWORD dst_unused:UNUSED_PAD src0_sel:DWORD src1_sel:WORD_1
	v_fmac_f16_e32 v2, v0, v190
	v_lshrrev_b32_e32 v0, 16, v205
	v_sub_nc_u16 v6, v151, v6
	v_fma_f16 v1, v204, v190, -v1
	v_sub_f16_e32 v2, v0, v2
	v_sub_f16_e32 v1, v205, v1
	v_fma_f16 v0, v0, 2.0, -v2
	v_fma_f16 v4, v205, 2.0, -v1
	v_pack_b32_f16 v1, v1, v2
	v_lshrrev_b32_e32 v2, 16, v206
	v_pack_b32_f16 v0, v4, v0
	v_mad_u16 v4, 0x1e0, v9, v10
	v_mul_lo_u16 v9, 0x1e0, v8
	ds_write2_b32 v119, v0, v1 offset1:240
	v_lshrrev_b32_e32 v0, 16, v207
	v_mul_f16_sdwa v1, v207, v197 dst_sel:DWORD dst_unused:UNUSED_PAD src0_sel:DWORD src1_sel:WORD_1
	v_lshlrev_b32_sdwa v118, v27, v4 dst_sel:DWORD dst_unused:UNUSED_PAD src0_sel:DWORD src1_sel:WORD_0
	v_mad_u16 v4, 0x1e0, v12, v30
	v_sub_nc_u16 v9, v22, v9
	v_fmac_f16_e32 v1, v0, v197
	v_mul_f16_sdwa v0, v0, v197 dst_sel:DWORD dst_unused:UNUSED_PAD src0_sel:DWORD src1_sel:WORD_1
	v_lshlrev_b32_sdwa v125, v27, v4 dst_sel:DWORD dst_unused:UNUSED_PAD src0_sel:DWORD src1_sel:WORD_0
	v_mad_u16 v4, 0x1e0, v153, v179
	v_lshlrev_b32_sdwa v10, v27, v9 dst_sel:DWORD dst_unused:UNUSED_PAD src0_sel:DWORD src1_sel:WORD_0
	v_sub_f16_e32 v1, v2, v1
	v_fma_f16 v0, v207, v197, -v0
	v_mad_u16 v8, 0x3c0, v8, v9
	v_fma_f16 v2, v2, 2.0, -v1
	v_sub_f16_e32 v0, v206, v0
	v_fma_f16 v3, v206, 2.0, -v0
	v_pack_b32_f16 v0, v0, v1
	v_pack_b32_f16 v2, v3, v2
	ds_write2_b32 v118, v2, v0 offset1:240
	v_lshrrev_b32_e32 v0, 16, v208
	v_mul_f16_sdwa v2, v208, v200 dst_sel:DWORD dst_unused:UNUSED_PAD src0_sel:DWORD src1_sel:WORD_1
	v_mul_f16_sdwa v1, v0, v200 dst_sel:DWORD dst_unused:UNUSED_PAD src0_sel:DWORD src1_sel:WORD_1
	v_fmac_f16_e32 v2, v0, v200
	v_lshrrev_b32_e32 v0, 16, v209
	v_fma_f16 v1, v208, v200, -v1
	v_add_nc_u32_e32 v208, 0x2580, v11
	v_sub_f16_e32 v2, v0, v2
	v_sub_f16_e32 v1, v209, v1
	v_fma_f16 v0, v0, 2.0, -v2
	v_fma_f16 v3, v209, 2.0, -v1
	v_pack_b32_f16 v1, v1, v2
	v_lshrrev_b32_e32 v2, 16, v210
	v_lshlrev_b32_sdwa v209, v27, v4 dst_sel:DWORD dst_unused:UNUSED_PAD src0_sel:DWORD src1_sel:WORD_0
	v_mad_u16 v4, 0x1e0, v189, v201
	v_pack_b32_f16 v0, v3, v0
	ds_write2_b32 v126, v0, v1 offset1:240
	v_lshrrev_b32_e32 v0, 16, v211
	v_mul_f16_sdwa v1, v211, v183 dst_sel:DWORD dst_unused:UNUSED_PAD src0_sel:DWORD src1_sel:WORD_1
	v_fmac_f16_e32 v1, v0, v183
	v_mul_f16_sdwa v0, v0, v183 dst_sel:DWORD dst_unused:UNUSED_PAD src0_sel:DWORD src1_sel:WORD_1
	v_sub_f16_e32 v1, v2, v1
	v_fma_f16 v0, v211, v183, -v0
	v_fma_f16 v2, v2, 2.0, -v1
	v_sub_f16_e32 v0, v210, v0
	v_fma_f16 v3, v210, 2.0, -v0
	v_pack_b32_f16 v0, v0, v1
	v_add_nc_u32_e32 v210, 0x2d00, v215
	v_pack_b32_f16 v2, v3, v2
	ds_write2_b32 v125, v2, v0 offset1:240
	v_lshrrev_b32_e32 v0, 16, v212
	v_mul_f16_sdwa v2, v212, v181 dst_sel:DWORD dst_unused:UNUSED_PAD src0_sel:DWORD src1_sel:WORD_1
	v_mul_f16_sdwa v1, v0, v181 dst_sel:DWORD dst_unused:UNUSED_PAD src0_sel:DWORD src1_sel:WORD_1
	v_fmac_f16_e32 v2, v0, v181
	v_lshrrev_b32_e32 v0, 16, v213
	v_fma_f16 v1, v212, v181, -v1
	v_sub_f16_e32 v2, v0, v2
	v_sub_f16_e32 v1, v213, v1
	v_fma_f16 v0, v0, 2.0, -v2
	v_fma_f16 v3, v213, 2.0, -v1
	v_pack_b32_f16 v1, v1, v2
	v_lshrrev_b32_e32 v2, 16, v214
	v_lshlrev_b32_sdwa v213, v27, v4 dst_sel:DWORD dst_unused:UNUSED_PAD src0_sel:DWORD src1_sel:WORD_0
	v_pack_b32_f16 v0, v3, v0
	ds_write2_b32 v208, v0, v1 offset1:240
	v_lshrrev_b32_e32 v0, 16, v218
	v_mul_f16_sdwa v1, v218, v173 dst_sel:DWORD dst_unused:UNUSED_PAD src0_sel:DWORD src1_sel:WORD_1
	v_fmac_f16_e32 v1, v0, v173
	v_mul_f16_sdwa v0, v0, v173 dst_sel:DWORD dst_unused:UNUSED_PAD src0_sel:DWORD src1_sel:WORD_1
	v_sub_f16_e32 v1, v2, v1
	v_fma_f16 v0, v218, v173, -v0
	v_fma_f16 v2, v2, 2.0, -v1
	v_sub_f16_e32 v0, v214, v0
	v_fma_f16 v3, v214, 2.0, -v0
	v_pack_b32_f16 v0, v0, v1
	v_pack_b32_f16 v2, v3, v2
	ds_write2_b32 v209, v2, v0 offset1:240
	v_lshrrev_b32_e32 v0, 16, v219
	v_mul_f16_sdwa v2, v219, v172 dst_sel:DWORD dst_unused:UNUSED_PAD src0_sel:DWORD src1_sel:WORD_1
	v_mul_f16_sdwa v1, v0, v172 dst_sel:DWORD dst_unused:UNUSED_PAD src0_sel:DWORD src1_sel:WORD_1
	v_fmac_f16_e32 v2, v0, v172
	v_lshrrev_b32_e32 v0, 16, v220
	v_fma_f16 v1, v219, v172, -v1
	v_sub_f16_e32 v2, v0, v2
	v_sub_f16_e32 v1, v220, v1
	v_fma_f16 v0, v0, 2.0, -v2
	v_fma_f16 v3, v220, 2.0, -v1
	v_pack_b32_f16 v1, v1, v2
	v_lshrrev_b32_e32 v2, 16, v221
	v_pack_b32_f16 v0, v3, v0
	ds_write2_b32 v210, v0, v1 offset1:240
	v_lshrrev_b32_e32 v0, 16, v222
	v_mul_f16_sdwa v1, v222, v170 dst_sel:DWORD dst_unused:UNUSED_PAD src0_sel:DWORD src1_sel:WORD_1
	v_fmac_f16_e32 v1, v0, v170
	v_mul_f16_sdwa v0, v0, v170 dst_sel:DWORD dst_unused:UNUSED_PAD src0_sel:DWORD src1_sel:WORD_1
	v_sub_f16_e32 v1, v2, v1
	v_fma_f16 v0, v222, v170, -v0
	v_fma_f16 v2, v2, 2.0, -v1
	v_sub_f16_e32 v0, v221, v0
	v_fma_f16 v3, v221, 2.0, -v0
	v_pack_b32_f16 v0, v0, v1
	v_pack_b32_f16 v2, v3, v2
	ds_write2_b32 v213, v2, v0 offset1:240
	v_add_co_u32 v0, s0, 0xffffffa0, v217
	v_add_co_ci_u32_e64 v1, null, 0, -1, s0
	v_mul_f16_sdwa v2, v223, v169 dst_sel:DWORD dst_unused:UNUSED_PAD src0_sel:DWORD src1_sel:WORD_1
	v_cndmask_b32_e32 v203, v0, v25, vcc_lo
	v_lshrrev_b32_e32 v0, 16, v223
	v_cndmask_b32_e64 v204, v1, 0, vcc_lo
	v_add_co_u32 v30, s0, s2, v50
	v_add_co_ci_u32_e64 v29, null, s3, 0, s0
	v_mul_f16_sdwa v1, v0, v169 dst_sel:DWORD dst_unused:UNUSED_PAD src0_sel:DWORD src1_sel:WORD_1
	v_fmac_f16_e32 v2, v0, v169
	v_lshlrev_b64 v[23:24], 2, v[203:204]
	v_fma_f16 v1, v223, v169, -v1
	v_add_co_u32 v23, vcc_lo, s2, v23
	v_sub_f16_e32 v0, v168, v1
	v_lshrrev_b32_e32 v1, 16, v168
	v_add_co_ci_u32_e32 v24, vcc_lo, s3, v24, vcc_lo
	v_fma_f16 v3, v168, 2.0, -v0
	v_sub_f16_e32 v2, v1, v2
	v_lshlrev_b32_sdwa v168, v27, v5 dst_sel:DWORD dst_unused:UNUSED_PAD src0_sel:DWORD src1_sel:WORD_0
	v_fma_f16 v1, v1, 2.0, -v2
	v_pack_b32_f16 v0, v0, v2
	v_lshrrev_b32_e32 v2, 20, v176
	v_pack_b32_f16 v1, v3, v1
	v_lshrrev_b32_e32 v3, 20, v175
	v_mul_lo_u16 v2, 0x1e0, v2
	ds_write2_b32 v117, v1, v0 offset1:240
	v_lshrrev_b32_e32 v0, 20, v180
	v_lshrrev_b32_e32 v1, 20, v177
	v_sub_nc_u16 v2, v156, v2
	v_add_co_u32 v156, vcc_lo, 0x800, v30
	v_mul_lo_u16 v0, 0x1e0, v0
	v_mul_lo_u16 v1, 0x1e0, v1
	s_waitcnt lgkmcnt(0)
	s_barrier
	buffer_gl0_inv
	v_sub_nc_u16 v0, v157, v0
	v_add_co_ci_u32_e32 v157, vcc_lo, 0, v29, vcc_lo
	global_load_dword v179, v[23:24], off offset:1880
	v_sub_nc_u16 v1, v154, v1
	s_clause 0x1
	global_load_dword v184, v10, s[2:3] offset:1880
	global_load_dword v245, v50, s[2:3] offset:1880
	ds_read2st64_b32 v[153:154], v50 offset0:28 offset1:30
	s_clause 0x3
	global_load_dword v188, v[156:157], off offset:984
	global_load_dword v195, v[156:157], off offset:472
	global_load_dword v234, v50, s[2:3] offset:2008
	global_load_dword v236, v[156:157], off offset:344
	ds_read2st64_b32 v[23:24], v50 offset0:32 offset1:34
	v_mul_lo_u16 v4, 0x1e0, v3
	v_lshlrev_b32_sdwa v180, v27, v0 dst_sel:DWORD dst_unused:UNUSED_PAD src0_sel:DWORD src1_sel:WORD_0
	v_lshlrev_b32_sdwa v177, v27, v1 dst_sel:DWORD dst_unused:UNUSED_PAD src0_sel:DWORD src1_sel:WORD_0
	;; [unrolled: 1-line block ×3, first 2 shown]
	v_cmp_lt_u64_e32 vcc_lo, 0x1df, v[25:26]
	v_sub_nc_u16 v4, v167, v4
	ds_read2st64_b32 v[166:167], v50 offset1:2
	v_lshlrev_b32_sdwa v0, v27, v4 dst_sel:DWORD dst_unused:UNUSED_PAD src0_sel:DWORD src1_sel:WORD_0
	global_load_dword v187, v0, s[2:3] offset:1880
	s_waitcnt lgkmcnt(2)
	v_lshrrev_b32_e32 v10, 16, v154
	s_waitcnt lgkmcnt(1)
	v_lshrrev_b32_e32 v12, 16, v23
	v_lshrrev_b32_e32 v0, 16, v24
	s_waitcnt lgkmcnt(0)
	v_lshrrev_b32_e32 v148, 16, v167
	s_waitcnt vmcnt(5)
	v_mul_f16_sdwa v11, v154, v245 dst_sel:DWORD dst_unused:UNUSED_PAD src0_sel:DWORD src1_sel:WORD_1
	s_waitcnt vmcnt(1)
	v_mul_f16_sdwa v28, v23, v236 dst_sel:DWORD dst_unused:UNUSED_PAD src0_sel:DWORD src1_sel:WORD_1
	v_fmac_f16_e32 v11, v10, v245
	v_mul_f16_sdwa v10, v10, v245 dst_sel:DWORD dst_unused:UNUSED_PAD src0_sel:DWORD src1_sel:WORD_1
	v_fmac_f16_e32 v28, v12, v236
	v_mul_f16_sdwa v12, v12, v236 dst_sel:DWORD dst_unused:UNUSED_PAD src0_sel:DWORD src1_sel:WORD_1
	v_fma_f16 v10, v154, v245, -v10
	v_sub_f16_e32 v28, v148, v28
	v_fma_f16 v12, v23, v236, -v12
	v_lshrrev_b32_e32 v23, 16, v166
	v_sub_f16_e32 v10, v166, v10
	v_fma_f16 v148, v148, 2.0, -v28
	v_sub_f16_e32 v12, v167, v12
	v_sub_f16_e32 v11, v23, v11
	v_fma_f16 v151, v166, 2.0, -v10
	v_lshlrev_b32_sdwa v166, v27, v7 dst_sel:DWORD dst_unused:UNUSED_PAD src0_sel:DWORD src1_sel:WORD_0
	v_fma_f16 v154, v167, 2.0, -v12
	v_lshlrev_b32_sdwa v167, v27, v6 dst_sel:DWORD dst_unused:UNUSED_PAD src0_sel:DWORD src1_sel:WORD_0
	s_clause 0x6
	global_load_dword v247, v[156:157], off offset:856
	global_load_dword v194, v180, s[2:3] offset:1880
	global_load_dword v192, v177, s[2:3] offset:1880
	;; [unrolled: 1-line block ×6, first 2 shown]
	ds_read2st64_b32 v[204:205], v50 offset0:4 offset1:6
	ds_read2st64_b32 v[206:207], v50 offset0:36 offset1:38
	;; [unrolled: 1-line block ×12, first 2 shown]
	s_waitcnt vmcnt(0) lgkmcnt(0)
	s_barrier
	buffer_gl0_inv
	v_fma_f16 v23, v23, 2.0, -v11
	v_pack_b32_f16 v148, v154, v148
	v_lshrrev_b32_e32 v5, 16, v204
	v_mul_f16_sdwa v7, v207, v234 dst_sel:DWORD dst_unused:UNUSED_PAD src0_sel:DWORD src1_sel:WORD_1
	v_pack_b32_f16 v23, v151, v23
	ds_write2st64_b32 v50, v23, v148 offset1:2
	v_mov_b32_e32 v23, v26
	v_mul_f16_sdwa v148, v248, v187 dst_sel:DWORD dst_unused:UNUSED_PAD src0_sel:DWORD src1_sel:WORD_1
	v_lshrrev_b32_e32 v154, 16, v252
	v_lshrrev_b32_e32 v174, 16, v253
	v_mul_f16_sdwa v1, v0, v247 dst_sel:DWORD dst_unused:UNUSED_PAD src0_sel:DWORD src1_sel:WORD_1
	v_mul_f16_sdwa v2, v24, v247 dst_sel:DWORD dst_unused:UNUSED_PAD src0_sel:DWORD src1_sel:WORD_1
	;; [unrolled: 1-line block ×4, first 2 shown]
	v_fma_f16 v1, v24, v247, -v1
	v_fmac_f16_e32 v2, v0, v247
	v_pack_b32_f16 v0, v10, v11
	v_lshrrev_b32_e32 v10, 16, v218
	v_mul_f16_sdwa v11, v218, v195 dst_sel:DWORD dst_unused:UNUSED_PAD src0_sel:DWORD src1_sel:WORD_1
	v_sub_f16_e32 v1, v204, v1
	v_sub_f16_e32 v2, v5, v2
	v_lshrrev_b32_e32 v24, 16, v215
	v_mul_f16_sdwa v171, v154, v186 dst_sel:DWORD dst_unused:UNUSED_PAD src0_sel:DWORD src1_sel:WORD_1
	v_fmac_f16_e32 v11, v10, v195
	v_fma_f16 v6, v204, 2.0, -v1
	v_fma_f16 v5, v5, 2.0, -v2
	v_pack_b32_f16 v1, v1, v2
	v_add_nc_u32_e32 v204, 0x80, v50
	v_lshrrev_b32_e32 v2, 16, v207
	v_mul_f16_sdwa v10, v10, v195 dst_sel:DWORD dst_unused:UNUSED_PAD src0_sel:DWORD src1_sel:WORD_1
	v_pack_b32_f16 v5, v6, v5
	v_mul_f16_sdwa v6, v206, v179 dst_sel:DWORD dst_unused:UNUSED_PAD src0_sel:DWORD src1_sel:WORD_1
	v_fmac_f16_e32 v182, v154, v186
	v_fmac_f16_e32 v7, v2, v234
	v_fma_f16 v10, v218, v195, -v10
	ds_write2_b32 v102, v5, v0 offset1:224
	v_pack_b32_f16 v0, v12, v28
	v_mul_f16_sdwa v5, v2, v234 dst_sel:DWORD dst_unused:UNUSED_PAD src0_sel:DWORD src1_sel:WORD_1
	v_lshrrev_b32_e32 v12, 16, v214
	v_sub_f16_e32 v10, v215, v10
	v_lshrrev_b32_e32 v154, 16, v225
	ds_write2st64_b32 v204, v0, v1 offset0:9 offset1:11
	v_cndmask_b32_e64 v0, 0, 0x3c0, vcc_lo
	v_fma_f16 v5, v207, v234, -v5
	v_fma_f16 v26, v215, 2.0, -v10
	v_mul_f16_sdwa v201, v253, v185 dst_sel:DWORD dst_unused:UNUSED_PAD src0_sel:DWORD src1_sel:WORD_1
	v_mul_f16_sdwa v176, v174, v185 dst_sel:DWORD dst_unused:UNUSED_PAD src0_sel:DWORD src1_sel:WORD_1
	v_add_lshl_u32 v211, v0, v203, 2
	v_lshrrev_b32_e32 v0, 16, v206
	v_sub_f16_e32 v5, v214, v5
	v_fmac_f16_e32 v201, v174, v185
	v_fma_f16 v171, v252, v186, -v171
	v_lshrrev_b32_e32 v215, 16, v251
	v_mul_f16_sdwa v1, v0, v179 dst_sel:DWORD dst_unused:UNUSED_PAD src0_sel:DWORD src1_sel:WORD_1
	v_fmac_f16_e32 v6, v0, v179
	v_fma_f16 v25, v214, 2.0, -v5
	v_lshrrev_b32_e32 v214, 16, v250
	v_fma_f16 v176, v253, v185, -v176
	v_fma_f16 v1, v206, v179, -v1
	v_lshrrev_b32_e32 v206, 16, v243
	v_cmp_gt_u64_e32 vcc_lo, 0x3c0, v[22:23]
	v_sub_f16_e32 v171, v251, v171
	v_sub_f16_e32 v176, v153, v176
	;; [unrolled: 1-line block ×3, first 2 shown]
	v_lshrrev_b32_e32 v1, 16, v205
	v_fma_f16 v2, v205, 2.0, -v0
	v_sub_f16_e32 v6, v1, v6
	v_lshrrev_b32_e32 v205, 16, v242
	v_fma_f16 v1, v1, 2.0, -v6
	v_pack_b32_f16 v0, v0, v6
	v_pack_b32_f16 v1, v2, v1
	v_sub_f16_e32 v2, v12, v7
	v_sub_f16_e32 v7, v24, v11
	v_fma_f16 v6, v12, 2.0, -v2
	v_fma_f16 v11, v24, 2.0, -v7
	v_mul_f16_sdwa v12, v238, v193 dst_sel:DWORD dst_unused:UNUSED_PAD src0_sel:DWORD src1_sel:WORD_1
	v_lshrrev_b32_e32 v24, 16, v248
	v_pack_b32_f16 v6, v25, v6
	v_pack_b32_f16 v11, v26, v11
	ds_write_b32 v211, v1
	ds_write_b32 v211, v0 offset:1920
	ds_write2st64_b32 v204, v6, v11 offset0:15 offset1:17
	v_lshrrev_b32_e32 v0, 16, v219
	v_mul_f16_sdwa v6, v219, v188 dst_sel:DWORD dst_unused:UNUSED_PAD src0_sel:DWORD src1_sel:WORD_1
	v_lshrrev_b32_e32 v26, 16, v249
	v_mul_f16_sdwa v25, v24, v187 dst_sel:DWORD dst_unused:UNUSED_PAD src0_sel:DWORD src1_sel:WORD_1
	v_fmac_f16_e32 v148, v24, v187
	v_mul_f16_sdwa v1, v0, v188 dst_sel:DWORD dst_unused:UNUSED_PAD src0_sel:DWORD src1_sel:WORD_1
	v_fmac_f16_e32 v6, v0, v188
	v_pack_b32_f16 v0, v5, v2
	v_lshrrev_b32_e32 v2, 16, v220
	v_mul_f16_sdwa v28, v26, v189 dst_sel:DWORD dst_unused:UNUSED_PAD src0_sel:DWORD src1_sel:WORD_1
	v_fma_f16 v1, v219, v188, -v1
	v_fmac_f16_e32 v151, v26, v189
	v_lshrrev_b32_e32 v26, 16, v224
	v_sub_f16_e32 v5, v2, v6
	v_fma_f16 v25, v248, v187, -v25
	v_sub_f16_e32 v1, v220, v1
	v_fma_f16 v28, v249, v189, -v28
	v_fma_f16 v2, v2, 2.0, -v5
	v_sub_f16_e32 v25, v243, v25
	v_fma_f16 v6, v220, 2.0, -v1
	v_add_nc_u32_e32 v220, 0x1380, v50
	v_pack_b32_f16 v1, v1, v5
	v_sub_f16_e32 v28, v250, v28
	v_fma_f16 v212, v243, 2.0, -v25
	v_pack_b32_f16 v2, v6, v2
	v_mul_f16_sdwa v6, v222, v184 dst_sel:DWORD dst_unused:UNUSED_PAD src0_sel:DWORD src1_sel:WORD_1
	v_fma_f16 v218, v250, 2.0, -v28
	ds_write2_b32 v220, v2, v0 offset1:224
	v_pack_b32_f16 v0, v10, v7
	v_lshrrev_b32_e32 v2, 16, v223
	v_mul_f16_sdwa v7, v223, v194 dst_sel:DWORD dst_unused:UNUSED_PAD src0_sel:DWORD src1_sel:WORD_1
	v_lshrrev_b32_e32 v10, 16, v238
	ds_write2st64_b32 v50, v0, v1 offset0:25 offset1:27
	v_lshrrev_b32_e32 v0, 16, v222
	v_mul_f16_sdwa v5, v2, v194 dst_sel:DWORD dst_unused:UNUSED_PAD src0_sel:DWORD src1_sel:WORD_1
	v_fmac_f16_e32 v7, v2, v194
	v_mul_f16_sdwa v2, v237, v192 dst_sel:DWORD dst_unused:UNUSED_PAD src0_sel:DWORD src1_sel:WORD_1
	v_mul_f16_sdwa v11, v10, v193 dst_sel:DWORD dst_unused:UNUSED_PAD src0_sel:DWORD src1_sel:WORD_1
	;; [unrolled: 1-line block ×3, first 2 shown]
	v_fmac_f16_e32 v6, v0, v184
	v_lshrrev_b32_e32 v0, 16, v237
	v_fmac_f16_e32 v12, v10, v193
	v_lshrrev_b32_e32 v10, 16, v221
	v_fma_f16 v1, v222, v184, -v1
	v_fma_f16 v5, v223, v194, -v5
	v_fmac_f16_e32 v2, v0, v192
	v_mul_f16_sdwa v0, v0, v192 dst_sel:DWORD dst_unused:UNUSED_PAD src0_sel:DWORD src1_sel:WORD_1
	v_sub_f16_e32 v6, v10, v6
	v_sub_f16_e32 v1, v221, v1
	v_sub_f16_e32 v5, v224, v5
	v_sub_f16_e32 v2, v154, v2
	v_fma_f16 v0, v237, v192, -v0
	v_fma_f16 v9, v10, 2.0, -v6
	v_fma_f16 v24, v221, 2.0, -v1
	v_pack_b32_f16 v1, v1, v6
	v_sub_f16_e32 v6, v26, v7
	v_sub_f16_e32 v0, v225, v0
	v_fma_f16 v174, v224, 2.0, -v5
	v_pack_b32_f16 v9, v24, v9
	v_lshlrev_b32_sdwa v224, v27, v8 dst_sel:DWORD dst_unused:UNUSED_PAD src0_sel:DWORD src1_sel:WORD_0
	v_fma_f16 v7, v26, 2.0, -v6
	v_fma_f16 v203, v225, 2.0, -v0
	v_pack_b32_f16 v5, v5, v6
	v_fma_f16 v6, v154, 2.0, -v2
	v_fma_f16 v11, v238, v193, -v11
	v_pack_b32_f16 v7, v174, v7
	v_pack_b32_f16 v0, v0, v2
	ds_write_b32 v224, v9
	v_pack_b32_f16 v6, v203, v6
	ds_write_b32 v224, v1 offset:1920
	ds_write_b32 v180, v7 offset:7680
	;; [unrolled: 1-line block ×5, first 2 shown]
	v_mad_u16 v0, 0x3c0, v3, v4
	v_sub_f16_e32 v11, v242, v11
	v_sub_f16_e32 v1, v205, v12
	;; [unrolled: 1-line block ×3, first 2 shown]
	v_lshrrev_b32_e32 v222, 16, v153
	v_lshlrev_b32_sdwa v219, v27, v0 dst_sel:DWORD dst_unused:UNUSED_PAD src0_sel:DWORD src1_sel:WORD_0
	v_sub_f16_e32 v0, v206, v148
	v_fma_f16 v207, v242, 2.0, -v11
	v_fma_f16 v2, v205, 2.0, -v1
	v_fma_f16 v5, v214, 2.0, -v4
	v_pack_b32_f16 v1, v11, v1
	v_fma_f16 v3, v206, 2.0, -v0
	v_pack_b32_f16 v0, v25, v0
	v_pack_b32_f16 v2, v207, v2
	;; [unrolled: 1-line block ×3, first 2 shown]
	v_fma_f16 v221, v251, 2.0, -v171
	v_pack_b32_f16 v3, v212, v3
	ds_write_b32 v175, v2 offset:7680
	ds_write_b32 v175, v1 offset:9600
	ds_write_b32 v219, v3
	ds_write_b32 v219, v0 offset:1920
	ds_write_b32 v168, v5 offset:11520
	v_add_co_u32 v5, s0, 0xffffffc0, v217
	v_add_co_ci_u32_e64 v6, null, 0, -1, s0
	v_sub_f16_e32 v1, v215, v182
	v_sub_f16_e32 v3, v222, v201
	v_cndmask_b32_e32 v26, v5, v22, vcc_lo
	v_cndmask_b32_e64 v27, v6, 0, vcc_lo
	v_fma_f16 v153, v153, 2.0, -v176
	v_fma_f16 v2, v215, 2.0, -v1
	v_pack_b32_f16 v0, v28, v4
	v_fma_f16 v4, v222, 2.0, -v3
	v_lshlrev_b64 v[24:25], 2, v[26:27]
	v_pack_b32_f16 v1, v171, v1
	v_pack_b32_f16 v2, v221, v2
	s_load_dwordx2 s[0:1], s[4:5], 0x38
	v_pack_b32_f16 v4, v153, v4
	ds_write_b32 v168, v0 offset:13440
	ds_write_b32 v167, v2 offset:11520
	;; [unrolled: 1-line block ×4, first 2 shown]
	v_add_co_u32 v0, vcc_lo, s2, v24
	v_add_co_ci_u32_e32 v1, vcc_lo, s3, v25, vcc_lo
	v_pack_b32_f16 v2, v176, v3
	v_add_co_u32 v24, vcc_lo, 0x800, v0
	v_add_co_ci_u32_e32 v25, vcc_lo, 0, v1, vcc_lo
	ds_write_b32 v166, v2 offset:13440
	s_waitcnt lgkmcnt(0)
	s_barrier
	buffer_gl0_inv
	s_clause 0x2
	global_load_dword v153, v[24:25], off offset:1752
	global_load_dword v201, v[156:157], off offset:1752
	;; [unrolled: 1-line block ×3, first 2 shown]
	v_add_co_u32 v24, vcc_lo, 0x1000, v30
	v_add_co_ci_u32_e32 v25, vcc_lo, 0, v29, vcc_lo
	s_clause 0x7
	global_load_dword v223, v[24:25], off offset:216
	global_load_dword v157, v[24:25], off offset:472
	;; [unrolled: 1-line block ×8, first 2 shown]
	ds_read2st64_b32 v[205:206], v50 offset0:28 offset1:30
	ds_read2st64_b32 v[214:215], v50 offset0:32 offset1:34
	ds_read2st64_b32 v[24:25], v50 offset1:2
	s_mul_hi_u32 s4, s8, 0x600
	s_mul_i32 s5, s8, 0x600
	s_waitcnt lgkmcnt(2)
	v_lshrrev_b32_e32 v0, 16, v206
	s_waitcnt lgkmcnt(1)
	v_lshrrev_b32_e32 v2, 16, v214
	s_waitcnt vmcnt(9)
	v_mul_f16_sdwa v1, v206, v201 dst_sel:DWORD dst_unused:UNUSED_PAD src0_sel:DWORD src1_sel:WORD_1
	s_waitcnt vmcnt(7)
	v_mul_f16_sdwa v3, v214, v223 dst_sel:DWORD dst_unused:UNUSED_PAD src0_sel:DWORD src1_sel:WORD_1
	v_fmac_f16_e32 v1, v0, v201
	v_mul_f16_sdwa v0, v0, v201 dst_sel:DWORD dst_unused:UNUSED_PAD src0_sel:DWORD src1_sel:WORD_1
	v_fmac_f16_e32 v3, v2, v223
	v_mul_f16_sdwa v2, v2, v223 dst_sel:DWORD dst_unused:UNUSED_PAD src0_sel:DWORD src1_sel:WORD_1
	s_waitcnt vmcnt(2)
	v_mul_f16_sdwa v212, v215, v225 dst_sel:DWORD dst_unused:UNUSED_PAD src0_sel:DWORD src1_sel:WORD_1
	v_fma_f16 v0, v206, v201, -v0
	v_fma_f16 v2, v214, v223, -v2
	s_waitcnt lgkmcnt(0)
	v_sub_f16_e32 v10, v24, v0
	v_lshrrev_b32_e32 v0, 16, v24
	v_sub_f16_e32 v11, v25, v2
	v_lshrrev_b32_e32 v2, 16, v25
	v_fma_f16 v4, v24, 2.0, -v10
	v_add_co_u32 v24, vcc_lo, 0x1800, v30
	v_fma_f16 v5, v25, 2.0, -v11
	v_add_co_ci_u32_e32 v25, vcc_lo, 0, v29, vcc_lo
	s_clause 0x3
	global_load_dword v244, v[24:25], off offset:216
	global_load_dword v243, v[24:25], off offset:728
	;; [unrolled: 1-line block ×4, first 2 shown]
	v_sub_f16_e32 v12, v0, v1
	v_sub_f16_e32 v182, v2, v3
	v_cmp_lt_u64_e32 vcc_lo, 0x3bf, v[22:23]
	v_fma_f16 v0, v0, 2.0, -v12
	v_pack_b32_f16 v11, v11, v182
	v_pack_b32_f16 v10, v10, v12
	;; [unrolled: 1-line block ×3, first 2 shown]
	v_fma_f16 v0, v2, 2.0, -v182
	v_pack_b32_f16 v203, v5, v0
	ds_read2st64_b32 v[206:207], v50 offset0:4 offset1:6
	ds_read2st64_b32 v[237:238], v50 offset0:36 offset1:38
	;; [unrolled: 1-line block ×12, first 2 shown]
	s_waitcnt vmcnt(0) lgkmcnt(0)
	s_barrier
	buffer_gl0_inv
	ds_write2st64_b32 v50, v176, v203 offset1:2
	v_lshrrev_b32_e32 v176, 16, v215
	v_lshrrev_b32_e32 v182, 16, v206
	v_mul_f16_sdwa v203, v176, v225 dst_sel:DWORD dst_unused:UNUSED_PAD src0_sel:DWORD src1_sel:WORD_1
	v_fmac_f16_e32 v212, v176, v225
	v_fma_f16 v203, v215, v225, -v203
	v_lshrrev_b32_e32 v23, 16, v28
	v_sub_f16_e32 v176, v206, v203
	v_sub_f16_e32 v203, v182, v212
	v_pack_b32_f16 v212, v176, v203
	v_fma_f16 v176, v206, 2.0, -v176
	v_lshrrev_b32_e32 v206, 16, v207
	ds_write2st64_b32 v50, v11, v212 offset0:17 offset1:19
	v_fma_f16 v11, v182, 2.0, -v203
	v_lshrrev_b32_e32 v182, 16, v237
	v_mul_f16_sdwa v203, v237, v221 dst_sel:DWORD dst_unused:UNUSED_PAD src0_sel:DWORD src1_sel:WORD_1
	v_pack_b32_f16 v11, v176, v11
	v_fmac_f16_e32 v203, v182, v221
	v_mul_f16_sdwa v182, v182, v221 dst_sel:DWORD dst_unused:UNUSED_PAD src0_sel:DWORD src1_sel:WORD_1
	v_sub_f16_e32 v176, v206, v203
	v_fma_f16 v182, v237, v221, -v182
	v_fma_f16 v203, v206, 2.0, -v176
	v_sub_f16_e32 v182, v207, v182
	v_mul_f16_sdwa v206, v238, v222 dst_sel:DWORD dst_unused:UNUSED_PAD src0_sel:DWORD src1_sel:WORD_1
	v_fma_f16 v207, v207, 2.0, -v182
	v_pack_b32_f16 v203, v207, v203
	ds_write2st64_b32 v50, v11, v203 offset0:4 offset1:6
	v_lshrrev_b32_e32 v11, 16, v238
	v_mul_f16_sdwa v203, v11, v222 dst_sel:DWORD dst_unused:UNUSED_PAD src0_sel:DWORD src1_sel:WORD_1
	v_fmac_f16_e32 v206, v11, v222
	v_pack_b32_f16 v11, v182, v176
	v_lshrrev_b32_e32 v182, 16, v248
	v_fma_f16 v203, v238, v222, -v203
	v_sub_f16_e32 v176, v248, v203
	v_sub_f16_e32 v203, v182, v206
	v_pack_b32_f16 v206, v176, v203
	v_fma_f16 v176, v248, 2.0, -v176
	ds_write2st64_b32 v50, v11, v206 offset0:21 offset1:23
	v_fma_f16 v11, v182, 2.0, -v203
	v_lshrrev_b32_e32 v182, 16, v250
	v_lshrrev_b32_e32 v206, 16, v249
	v_pack_b32_f16 v11, v176, v11
	v_mul_f16_sdwa v203, v250, v244 dst_sel:DWORD dst_unused:UNUSED_PAD src0_sel:DWORD src1_sel:WORD_1
	v_fmac_f16_e32 v203, v182, v244
	v_mul_f16_sdwa v182, v182, v244 dst_sel:DWORD dst_unused:UNUSED_PAD src0_sel:DWORD src1_sel:WORD_1
	v_sub_f16_e32 v176, v206, v203
	v_fma_f16 v182, v250, v244, -v182
	v_fma_f16 v203, v206, 2.0, -v176
	v_sub_f16_e32 v182, v249, v182
	v_mul_f16_sdwa v206, v251, v243 dst_sel:DWORD dst_unused:UNUSED_PAD src0_sel:DWORD src1_sel:WORD_1
	v_fma_f16 v207, v249, 2.0, -v182
	v_pack_b32_f16 v203, v207, v203
	ds_write2st64_b32 v50, v11, v203 offset0:8 offset1:10
	v_lshrrev_b32_e32 v11, 16, v251
	v_mul_f16_sdwa v203, v11, v243 dst_sel:DWORD dst_unused:UNUSED_PAD src0_sel:DWORD src1_sel:WORD_1
	v_fmac_f16_e32 v206, v11, v243
	v_lshrrev_b32_e32 v11, 16, v252
	v_fma_f16 v203, v251, v243, -v203
	v_sub_f16_e32 v12, v11, v206
	v_sub_f16_e32 v203, v252, v203
	v_fma_f16 v11, v11, 2.0, -v12
	v_fma_f16 v206, v252, 2.0, -v203
	v_pack_b32_f16 v11, v206, v11
	ds_write2st64_b32 v50, v11, v10 offset0:12 offset1:15
	v_pack_b32_f16 v10, v182, v176
	v_pack_b32_f16 v11, v203, v12
	v_lshrrev_b32_e32 v12, 16, v253
	ds_write2st64_b32 v50, v10, v11 offset0:25 offset1:27
	v_cndmask_b32_e64 v10, 0, 0x780, vcc_lo
	v_mul_f16_sdwa v11, v254, v153 dst_sel:DWORD dst_unused:UNUSED_PAD src0_sel:DWORD src1_sel:WORD_1
	v_add_lshl_u32 v203, v10, v26, 2
	v_lshrrev_b32_e32 v10, 16, v254
	v_fmac_f16_e32 v11, v10, v153
	v_mul_f16_sdwa v10, v10, v153 dst_sel:DWORD dst_unused:UNUSED_PAD src0_sel:DWORD src1_sel:WORD_1
	v_sub_f16_e32 v11, v12, v11
	v_fma_f16 v10, v254, v153, -v10
	v_fma_f16 v12, v12, 2.0, -v11
	v_sub_f16_e32 v10, v253, v10
	v_fma_f16 v22, v253, 2.0, -v10
	v_pack_b32_f16 v10, v10, v11
	v_pack_b32_f16 v12, v22, v12
	v_mul_f16_sdwa v22, v0, v157 dst_sel:DWORD dst_unused:UNUSED_PAD src0_sel:DWORD src1_sel:WORD_1
	ds_write2st64_b32 v203, v12, v10 offset1:15
	v_lshrrev_b32_e32 v10, 16, v255
	v_mul_f16_sdwa v12, v255, v154 dst_sel:DWORD dst_unused:UNUSED_PAD src0_sel:DWORD src1_sel:WORD_1
	v_mul_f16_sdwa v11, v10, v154 dst_sel:DWORD dst_unused:UNUSED_PAD src0_sel:DWORD src1_sel:WORD_1
	v_fmac_f16_e32 v12, v10, v154
	v_lshrrev_b32_e32 v10, 16, v0
	v_fma_f16 v11, v255, v154, -v11
	v_fmac_f16_e32 v22, v10, v157
	v_mul_f16_sdwa v10, v10, v157 dst_sel:DWORD dst_unused:UNUSED_PAD src0_sel:DWORD src1_sel:WORD_1
	v_sub_f16_e32 v22, v23, v22
	v_fma_f16 v0, v0, v157, -v10
	v_sub_f16_e32 v10, v27, v11
	v_lshrrev_b32_e32 v11, 16, v27
	v_fma_f16 v23, v23, 2.0, -v22
	v_sub_f16_e32 v0, v28, v0
	v_fma_f16 v26, v27, 2.0, -v10
	v_sub_f16_e32 v12, v11, v12
	v_fma_f16 v27, v28, 2.0, -v0
	v_pack_b32_f16 v0, v0, v22
	v_fma_f16 v11, v11, 2.0, -v12
	v_lshrrev_b32_e32 v22, 16, v2
	v_pack_b32_f16 v23, v27, v23
	v_pack_b32_f16 v11, v26, v11
	ds_write2st64_b32 v50, v11, v23 offset0:31 offset1:33
	v_lshrrev_b32_e32 v11, 16, v1
	v_mul_f16_sdwa v23, v11, v151 dst_sel:DWORD dst_unused:UNUSED_PAD src0_sel:DWORD src1_sel:WORD_1
	v_fma_f16 v23, v1, v151, -v23
	v_mul_f16_sdwa v1, v1, v151 dst_sel:DWORD dst_unused:UNUSED_PAD src0_sel:DWORD src1_sel:WORD_1
	v_fmac_f16_e32 v1, v11, v151
	v_sub_f16_e32 v11, v2, v23
	v_sub_f16_e32 v1, v22, v1
	v_fma_f16 v2, v2, 2.0, -v11
	v_pack_b32_f16 v23, v11, v1
	ds_write2st64_b32 v50, v0, v23 offset0:48 offset1:50
	v_fma_f16 v0, v22, 2.0, -v1
	v_lshrrev_b32_e32 v1, 16, v4
	v_mul_f16_sdwa v22, v4, v148 dst_sel:DWORD dst_unused:UNUSED_PAD src0_sel:DWORD src1_sel:WORD_1
	v_pack_b32_f16 v0, v2, v0
	v_fmac_f16_e32 v22, v1, v148
	v_mul_f16_sdwa v1, v1, v148 dst_sel:DWORD dst_unused:UNUSED_PAD src0_sel:DWORD src1_sel:WORD_1
	v_fma_f16 v1, v4, v148, -v1
	v_lshrrev_b32_e32 v4, 16, v3
	v_sub_f16_e32 v1, v3, v1
	v_sub_f16_e32 v2, v4, v22
	v_fma_f16 v3, v3, 2.0, -v1
	v_fma_f16 v4, v4, 2.0, -v2
	v_pack_b32_f16 v3, v3, v4
	v_mul_f16_sdwa v4, v5, v156 dst_sel:DWORD dst_unused:UNUSED_PAD src0_sel:DWORD src1_sel:WORD_1
	ds_write2st64_b32 v50, v0, v3 offset0:35 offset1:37
	v_lshrrev_b32_e32 v0, 16, v5
	v_mul_f16_sdwa v3, v0, v156 dst_sel:DWORD dst_unused:UNUSED_PAD src0_sel:DWORD src1_sel:WORD_1
	v_fmac_f16_e32 v4, v0, v156
	v_pack_b32_f16 v0, v1, v2
	v_lshrrev_b32_e32 v2, 16, v6
	v_fma_f16 v3, v5, v156, -v3
	v_sub_f16_e32 v1, v6, v3
	v_sub_f16_e32 v3, v2, v4
	v_pack_b32_f16 v4, v1, v3
	v_fma_f16 v1, v6, 2.0, -v1
	v_pack_b32_f16 v6, v10, v12
	ds_write2st64_b32 v50, v0, v4 offset0:52 offset1:54
	v_fma_f16 v0, v2, 2.0, -v3
	v_lshrrev_b32_e32 v2, 16, v8
	v_mul_f16_sdwa v3, v8, v174 dst_sel:DWORD dst_unused:UNUSED_PAD src0_sel:DWORD src1_sel:WORD_1
	v_lshrrev_b32_e32 v4, 16, v7
	v_pack_b32_f16 v0, v1, v0
	v_fmac_f16_e32 v3, v2, v174
	v_mul_f16_sdwa v2, v2, v174 dst_sel:DWORD dst_unused:UNUSED_PAD src0_sel:DWORD src1_sel:WORD_1
	v_sub_f16_e32 v1, v4, v3
	v_fma_f16 v2, v8, v174, -v2
	v_fma_f16 v3, v4, 2.0, -v1
	v_sub_f16_e32 v2, v7, v2
	v_mul_f16_sdwa v4, v9, v171 dst_sel:DWORD dst_unused:UNUSED_PAD src0_sel:DWORD src1_sel:WORD_1
	v_fma_f16 v5, v7, 2.0, -v2
	v_pack_b32_f16 v1, v2, v1
	v_pack_b32_f16 v3, v5, v3
	ds_write2st64_b32 v50, v0, v3 offset0:39 offset1:41
	v_lshrrev_b32_e32 v0, 16, v9
	v_mul_f16_sdwa v3, v0, v171 dst_sel:DWORD dst_unused:UNUSED_PAD src0_sel:DWORD src1_sel:WORD_1
	v_fmac_f16_e32 v4, v0, v171
	v_fma_f16 v3, v9, v171, -v3
	v_sub_f16_e32 v0, v205, v3
	v_lshrrev_b32_e32 v3, 16, v205
	v_fma_f16 v5, v205, 2.0, -v0
	v_sub_f16_e32 v4, v3, v4
	v_pack_b32_f16 v0, v0, v4
	v_fma_f16 v3, v3, 2.0, -v4
	ds_write2st64_b32 v50, v1, v0 offset0:56 offset1:58
	v_add_co_u32 v0, vcc_lo, 0x2000, v30
	v_pack_b32_f16 v3, v5, v3
	v_add_co_ci_u32_e32 v1, vcc_lo, 0, v29, vcc_lo
	ds_write2st64_b32 v50, v3, v6 offset0:43 offset1:46
	s_waitcnt lgkmcnt(0)
	s_barrier
	buffer_gl0_inv
	s_clause 0x3
	global_load_dword v182, v[0:1], off offset:472
	global_load_dword v214, v[0:1], off offset:984
	;; [unrolled: 1-line block ×4, first 2 shown]
	v_add_co_u32 v0, vcc_lo, 0x2800, v30
	v_add_co_ci_u32_e32 v1, vcc_lo, 0, v29, vcc_lo
	s_clause 0x3
	global_load_dword v235, v[24:25], off offset:2008
	global_load_dword v207, v[0:1], off offset:472
	;; [unrolled: 1-line block ×4, first 2 shown]
	ds_read2st64_b32 v[2:3], v50 offset0:32 offset1:34
	s_waitcnt lgkmcnt(0)
	v_lshrrev_b32_e32 v4, 16, v2
	v_lshrrev_b32_e32 v6, 16, v3
	s_waitcnt vmcnt(7)
	v_mul_f16_sdwa v7, v6, v182 dst_sel:DWORD dst_unused:UNUSED_PAD src0_sel:DWORD src1_sel:WORD_1
	v_mul_f16_sdwa v9, v3, v182 dst_sel:DWORD dst_unused:UNUSED_PAD src0_sel:DWORD src1_sel:WORD_1
	v_fma_f16 v7, v3, v182, -v7
	v_fmac_f16_e32 v9, v6, v182
	s_waitcnt vmcnt(3)
	v_mul_f16_sdwa v5, v4, v235 dst_sel:DWORD dst_unused:UNUSED_PAD src0_sel:DWORD src1_sel:WORD_1
	v_mul_f16_sdwa v8, v2, v235 dst_sel:DWORD dst_unused:UNUSED_PAD src0_sel:DWORD src1_sel:WORD_1
	v_fma_f16 v5, v2, v235, -v5
	ds_read2st64_b32 v[2:3], v50 offset1:2
	v_fmac_f16_e32 v8, v4, v235
	s_waitcnt lgkmcnt(0)
	v_sub_f16_e32 v10, v3, v5
	ds_read2st64_b32 v[4:5], v50 offset0:4 offset1:6
	v_lshrrev_b32_e32 v11, 16, v3
	v_fma_f16 v3, v3, 2.0, -v10
	v_sub_f16_e32 v8, v11, v8
	v_pack_b32_f16 v6, v10, v8
	v_lshrrev_b32_e32 v10, 16, v2
	v_fma_f16 v8, v11, 2.0, -v8
	v_pack_b32_f16 v3, v3, v8
	s_waitcnt lgkmcnt(0)
	v_lshrrev_b32_e32 v22, 16, v4
	v_sub_f16_e32 v12, v4, v7
	v_sub_f16_e32 v9, v22, v9
	v_fma_f16 v4, v4, 2.0, -v12
	v_pack_b32_f16 v7, v12, v9
	v_fma_f16 v8, v22, 2.0, -v9
	ds_write2st64_b32 v50, v6, v7 offset0:32 offset1:34
	ds_read2st64_b32 v[6:7], v50 offset0:28 offset1:30
	v_pack_b32_f16 v4, v4, v8
	s_waitcnt lgkmcnt(0)
	v_lshrrev_b32_e32 v23, 16, v7
	s_waitcnt vmcnt(0)
	v_mul_f16_sdwa v24, v7, v176 dst_sel:DWORD dst_unused:UNUSED_PAD src0_sel:DWORD src1_sel:WORD_1
	v_fmac_f16_e32 v24, v23, v176
	v_mul_f16_sdwa v23, v23, v176 dst_sel:DWORD dst_unused:UNUSED_PAD src0_sel:DWORD src1_sel:WORD_1
	v_sub_f16_e32 v11, v10, v24
	v_fma_f16 v7, v7, v176, -v23
	v_fma_f16 v10, v10, 2.0, -v11
	v_sub_f16_e32 v7, v2, v7
	v_fma_f16 v2, v2, 2.0, -v7
	v_pack_b32_f16 v2, v2, v10
	ds_write2st64_b32 v50, v2, v3 offset1:2
	ds_read2st64_b32 v[2:3], v50 offset0:36 offset1:38
	s_waitcnt lgkmcnt(0)
	v_lshrrev_b32_e32 v9, 16, v2
	v_mul_f16_sdwa v10, v2, v214 dst_sel:DWORD dst_unused:UNUSED_PAD src0_sel:DWORD src1_sel:WORD_1
	v_fmac_f16_e32 v10, v9, v214
	v_mul_f16_sdwa v9, v9, v214 dst_sel:DWORD dst_unused:UNUSED_PAD src0_sel:DWORD src1_sel:WORD_1
	v_fma_f16 v2, v2, v214, -v9
	v_lshrrev_b32_e32 v9, 16, v5
	v_sub_f16_e32 v2, v5, v2
	v_sub_f16_e32 v8, v9, v10
	v_fma_f16 v5, v5, 2.0, -v2
	v_fma_f16 v9, v9, 2.0, -v8
	v_pack_b32_f16 v5, v5, v9
	v_mul_f16_sdwa v9, v3, v206 dst_sel:DWORD dst_unused:UNUSED_PAD src0_sel:DWORD src1_sel:WORD_1
	ds_write2st64_b32 v50, v4, v5 offset0:4 offset1:6
	v_lshrrev_b32_e32 v4, 16, v3
	v_mul_f16_sdwa v5, v4, v206 dst_sel:DWORD dst_unused:UNUSED_PAD src0_sel:DWORD src1_sel:WORD_1
	v_fmac_f16_e32 v9, v4, v206
	v_pack_b32_f16 v4, v2, v8
	v_fma_f16 v5, v3, v206, -v5
	ds_read2st64_b32 v[2:3], v50 offset0:8 offset1:10
	s_waitcnt lgkmcnt(0)
	v_sub_f16_e32 v8, v2, v5
	v_lshrrev_b32_e32 v5, 16, v2
	v_fma_f16 v2, v2, 2.0, -v8
	v_sub_f16_e32 v9, v5, v9
	v_pack_b32_f16 v10, v8, v9
	v_fma_f16 v9, v5, 2.0, -v9
	v_lshrrev_b32_e32 v8, 16, v3
	ds_write2st64_b32 v50, v4, v10 offset0:36 offset1:38
	ds_read2st64_b32 v[4:5], v50 offset0:40 offset1:42
	v_pack_b32_f16 v2, v2, v9
	s_waitcnt lgkmcnt(0)
	v_lshrrev_b32_e32 v10, 16, v4
	v_mul_f16_sdwa v12, v4, v212 dst_sel:DWORD dst_unused:UNUSED_PAD src0_sel:DWORD src1_sel:WORD_1
	v_fmac_f16_e32 v12, v10, v212
	v_mul_f16_sdwa v10, v10, v212 dst_sel:DWORD dst_unused:UNUSED_PAD src0_sel:DWORD src1_sel:WORD_1
	v_sub_f16_e32 v9, v8, v12
	v_fma_f16 v4, v4, v212, -v10
	v_fma_f16 v8, v8, 2.0, -v9
	v_sub_f16_e32 v4, v3, v4
	v_fma_f16 v3, v3, 2.0, -v4
	v_pack_b32_f16 v4, v4, v9
	v_pack_b32_f16 v3, v3, v8
	ds_write2st64_b32 v50, v2, v3 offset0:8 offset1:10
	v_lshrrev_b32_e32 v2, 16, v5
	v_mul_f16_sdwa v3, v2, v207 dst_sel:DWORD dst_unused:UNUSED_PAD src0_sel:DWORD src1_sel:WORD_1
	v_fma_f16 v8, v5, v207, -v3
	v_mul_f16_sdwa v5, v5, v207 dst_sel:DWORD dst_unused:UNUSED_PAD src0_sel:DWORD src1_sel:WORD_1
	v_fmac_f16_e32 v5, v2, v207
	ds_read2st64_b32 v[2:3], v50 offset0:12 offset1:14
	s_waitcnt lgkmcnt(0)
	v_lshrrev_b32_e32 v9, 16, v2
	v_sub_f16_e32 v8, v2, v8
	v_sub_f16_e32 v5, v9, v5
	v_fma_f16 v2, v2, 2.0, -v8
	v_pack_b32_f16 v10, v8, v5
	v_fma_f16 v9, v9, 2.0, -v5
	v_lshrrev_b32_e32 v8, 16, v3
	ds_write2st64_b32 v50, v4, v10 offset0:40 offset1:42
	ds_read2st64_b32 v[4:5], v50 offset0:44 offset1:46
	v_pack_b32_f16 v2, v2, v9
	s_waitcnt lgkmcnt(0)
	v_lshrrev_b32_e32 v10, 16, v4
	v_mul_f16_sdwa v12, v4, v215 dst_sel:DWORD dst_unused:UNUSED_PAD src0_sel:DWORD src1_sel:WORD_1
	v_fmac_f16_e32 v12, v10, v215
	v_mul_f16_sdwa v10, v10, v215 dst_sel:DWORD dst_unused:UNUSED_PAD src0_sel:DWORD src1_sel:WORD_1
	v_sub_f16_e32 v9, v8, v12
	v_fma_f16 v4, v4, v215, -v10
	v_fma_f16 v8, v8, 2.0, -v9
	v_sub_f16_e32 v4, v3, v4
	v_fma_f16 v3, v3, 2.0, -v4
	v_pack_b32_f16 v4, v4, v9
	v_pack_b32_f16 v3, v3, v8
	ds_write2st64_b32 v50, v2, v3 offset0:12 offset1:14
	s_clause 0x1
	global_load_dword v230, v[0:1], off offset:1496
	global_load_dword v237, v[0:1], off offset:2008
	v_add_co_u32 v0, vcc_lo, 0x3000, v30
	v_add_co_ci_u32_e32 v1, vcc_lo, 0, v29, vcc_lo
	s_clause 0x3
	global_load_dword v238, v[0:1], off offset:472
	global_load_dword v239, v[0:1], off offset:984
	;; [unrolled: 1-line block ×4, first 2 shown]
	v_add_co_u32 v0, vcc_lo, 0x3800, v30
	v_add_co_ci_u32_e32 v1, vcc_lo, 0, v29, vcc_lo
	global_load_dword v205, v[0:1], off offset:472
	v_lshrrev_b32_e32 v0, 16, v5
	s_waitcnt vmcnt(6)
	v_mul_f16_sdwa v1, v0, v230 dst_sel:DWORD dst_unused:UNUSED_PAD src0_sel:DWORD src1_sel:WORD_1
	v_mul_f16_sdwa v3, v5, v230 dst_sel:DWORD dst_unused:UNUSED_PAD src0_sel:DWORD src1_sel:WORD_1
	v_fma_f16 v2, v5, v230, -v1
	v_fmac_f16_e32 v3, v0, v230
	ds_read2st64_b32 v[0:1], v50 offset0:16 offset1:18
	s_waitcnt lgkmcnt(0)
	v_sub_f16_e32 v5, v0, v2
	v_lshrrev_b32_e32 v2, 16, v0
	v_fma_f16 v0, v0, 2.0, -v5
	v_sub_f16_e32 v3, v2, v3
	v_pack_b32_f16 v8, v5, v3
	v_lshrrev_b32_e32 v5, 16, v1
	ds_write2st64_b32 v50, v4, v8 offset0:44 offset1:46
	v_fma_f16 v4, v2, 2.0, -v3
	ds_read2st64_b32 v[2:3], v50 offset0:48 offset1:50
	v_pack_b32_f16 v0, v0, v4
	s_waitcnt lgkmcnt(0)
	v_lshrrev_b32_e32 v8, 16, v2
	s_waitcnt vmcnt(5)
	v_mul_f16_sdwa v9, v2, v237 dst_sel:DWORD dst_unused:UNUSED_PAD src0_sel:DWORD src1_sel:WORD_1
	v_fmac_f16_e32 v9, v8, v237
	v_mul_f16_sdwa v8, v8, v237 dst_sel:DWORD dst_unused:UNUSED_PAD src0_sel:DWORD src1_sel:WORD_1
	v_sub_f16_e32 v4, v5, v9
	v_fma_f16 v2, v2, v237, -v8
	v_fma_f16 v5, v5, 2.0, -v4
	v_sub_f16_e32 v2, v1, v2
	v_fma_f16 v1, v1, 2.0, -v2
	v_pack_b32_f16 v2, v2, v4
	v_pack_b32_f16 v1, v1, v5
	ds_write2st64_b32 v50, v0, v1 offset0:16 offset1:18
	v_lshrrev_b32_e32 v0, 16, v3
	s_waitcnt vmcnt(4)
	v_mul_f16_sdwa v1, v0, v238 dst_sel:DWORD dst_unused:UNUSED_PAD src0_sel:DWORD src1_sel:WORD_1
	v_fma_f16 v5, v3, v238, -v1
	v_mul_f16_sdwa v3, v3, v238 dst_sel:DWORD dst_unused:UNUSED_PAD src0_sel:DWORD src1_sel:WORD_1
	v_fmac_f16_e32 v3, v0, v238
	ds_read2st64_b32 v[0:1], v50 offset0:20 offset1:22
	s_waitcnt lgkmcnt(0)
	v_sub_f16_e32 v4, v0, v5
	v_lshrrev_b32_e32 v5, 16, v0
	v_fma_f16 v0, v0, 2.0, -v4
	v_sub_f16_e32 v3, v5, v3
	v_pack_b32_f16 v8, v4, v3
	v_fma_f16 v5, v5, 2.0, -v3
	v_lshrrev_b32_e32 v4, 16, v1
	ds_write2st64_b32 v50, v2, v8 offset0:48 offset1:50
	ds_read2st64_b32 v[2:3], v50 offset0:52 offset1:54
	v_pack_b32_f16 v0, v0, v5
	s_waitcnt lgkmcnt(0)
	v_lshrrev_b32_e32 v8, 16, v2
	s_waitcnt vmcnt(3)
	v_mul_f16_sdwa v9, v2, v239 dst_sel:DWORD dst_unused:UNUSED_PAD src0_sel:DWORD src1_sel:WORD_1
	v_fmac_f16_e32 v9, v8, v239
	v_mul_f16_sdwa v8, v8, v239 dst_sel:DWORD dst_unused:UNUSED_PAD src0_sel:DWORD src1_sel:WORD_1
	v_sub_f16_e32 v5, v4, v9
	v_fma_f16 v2, v2, v239, -v8
	v_fma_f16 v4, v4, 2.0, -v5
	v_sub_f16_e32 v2, v1, v2
	v_fma_f16 v1, v1, 2.0, -v2
	v_pack_b32_f16 v2, v2, v5
	v_pack_b32_f16 v1, v1, v4
	ds_write2st64_b32 v50, v0, v1 offset0:20 offset1:22
	v_lshrrev_b32_e32 v0, 16, v3
	s_waitcnt vmcnt(2)
	v_mul_f16_sdwa v1, v0, v242 dst_sel:DWORD dst_unused:UNUSED_PAD src0_sel:DWORD src1_sel:WORD_1
	v_fma_f16 v4, v3, v242, -v1
	v_mul_f16_sdwa v3, v3, v242 dst_sel:DWORD dst_unused:UNUSED_PAD src0_sel:DWORD src1_sel:WORD_1
	v_fmac_f16_e32 v3, v0, v242
	ds_read2st64_b32 v[0:1], v50 offset0:24 offset1:26
	s_waitcnt lgkmcnt(0)
	v_lshrrev_b32_e32 v5, 16, v0
	v_sub_f16_e32 v4, v0, v4
	v_sub_f16_e32 v3, v5, v3
	v_fma_f16 v0, v0, 2.0, -v4
	v_pack_b32_f16 v8, v4, v3
	v_fma_f16 v5, v5, 2.0, -v3
	v_lshrrev_b32_e32 v4, 16, v1
	ds_write2st64_b32 v50, v2, v8 offset0:52 offset1:54
	ds_read2st64_b32 v[2:3], v50 offset0:56 offset1:58
	v_pack_b32_f16 v0, v0, v5
	s_waitcnt lgkmcnt(0)
	v_lshrrev_b32_e32 v8, 16, v2
	s_waitcnt vmcnt(1)
	v_mul_f16_sdwa v9, v2, v218 dst_sel:DWORD dst_unused:UNUSED_PAD src0_sel:DWORD src1_sel:WORD_1
	v_fmac_f16_e32 v9, v8, v218
	v_mul_f16_sdwa v8, v8, v218 dst_sel:DWORD dst_unused:UNUSED_PAD src0_sel:DWORD src1_sel:WORD_1
	v_sub_f16_e32 v5, v4, v9
	v_fma_f16 v2, v2, v218, -v8
	v_fma_f16 v4, v4, 2.0, -v5
	v_sub_f16_e32 v2, v1, v2
	v_fma_f16 v1, v1, 2.0, -v2
	v_pack_b32_f16 v1, v1, v4
	ds_write2st64_b32 v50, v0, v1 offset0:24 offset1:26
	v_lshrrev_b32_e32 v0, 16, v3
	s_waitcnt vmcnt(0)
	v_mul_f16_sdwa v1, v0, v205 dst_sel:DWORD dst_unused:UNUSED_PAD src0_sel:DWORD src1_sel:WORD_1
	v_fma_f16 v1, v3, v205, -v1
	v_mul_f16_sdwa v3, v3, v205 dst_sel:DWORD dst_unused:UNUSED_PAD src0_sel:DWORD src1_sel:WORD_1
	v_fmac_f16_e32 v3, v0, v205
	v_sub_f16_e32 v0, v6, v1
	v_lshrrev_b32_e32 v1, 16, v6
	v_fma_f16 v4, v6, 2.0, -v0
	v_sub_f16_e32 v3, v1, v3
	v_pack_b32_f16 v6, v7, v11
	v_fma_f16 v1, v1, 2.0, -v3
	v_pack_b32_f16 v0, v0, v3
	v_pack_b32_f16 v1, v4, v1
	ds_write2st64_b32 v50, v1, v6 offset0:28 offset1:30
	v_pack_b32_f16 v1, v2, v5
	ds_write2st64_b32 v50, v1, v0 offset0:56 offset1:58
	s_waitcnt lgkmcnt(0)
	s_barrier
	buffer_gl0_inv
	s_clause 0x2
	global_load_dword v2, v50, s[6:7]
	global_load_dword v3, v50, s[6:7] offset:512
	global_load_dword v4, v50, s[6:7] offset:1024
	ds_read2st64_b32 v[0:1], v50 offset1:2
	s_waitcnt lgkmcnt(0)
	v_lshrrev_b32_e32 v5, 16, v0
	s_waitcnt vmcnt(2)
	v_mul_f16_sdwa v6, v0, v2 dst_sel:DWORD dst_unused:UNUSED_PAD src0_sel:DWORD src1_sel:WORD_1
	s_waitcnt vmcnt(1)
	v_mul_f16_sdwa v7, v1, v3 dst_sel:DWORD dst_unused:UNUSED_PAD src0_sel:DWORD src1_sel:WORD_1
	v_fmac_f16_e32 v6, v5, v2
	v_mul_f16_sdwa v5, v5, v2 dst_sel:DWORD dst_unused:UNUSED_PAD src0_sel:DWORD src1_sel:WORD_1
	v_fma_f16 v2, v0, v2, -v5
	v_lshrrev_b32_e32 v0, 16, v1
	v_mul_f16_sdwa v5, v0, v3 dst_sel:DWORD dst_unused:UNUSED_PAD src0_sel:DWORD src1_sel:WORD_1
	v_fmac_f16_e32 v7, v0, v3
	v_fma_f16 v5, v1, v3, -v5
	s_clause 0x3
	global_load_dword v3, v38, s[6:7]
	global_load_dword v8, v88, s[6:7]
	;; [unrolled: 1-line block ×3, first 2 shown]
	global_load_dword v10, v50, s[6:7] offset:1536
	ds_read2st64_b32 v[0:1], v50 offset0:12 offset1:14
	s_waitcnt lgkmcnt(0)
	v_lshrrev_b32_e32 v11, 16, v0
	v_lshrrev_b32_e32 v23, 16, v1
	s_waitcnt vmcnt(3)
	v_mul_f16_sdwa v12, v0, v3 dst_sel:DWORD dst_unused:UNUSED_PAD src0_sel:DWORD src1_sel:WORD_1
	v_fmac_f16_e32 v12, v11, v3
	v_mul_f16_sdwa v11, v11, v3 dst_sel:DWORD dst_unused:UNUSED_PAD src0_sel:DWORD src1_sel:WORD_1
	v_fma_f16 v3, v0, v3, -v11
	s_clause 0x2
	global_load_dword v0, v40, s[6:7]
	global_load_dword v11, v87, s[6:7]
	;; [unrolled: 1-line block ×3, first 2 shown]
	s_waitcnt vmcnt(2)
	v_mul_f16_sdwa v25, v1, v0 dst_sel:DWORD dst_unused:UNUSED_PAD src0_sel:DWORD src1_sel:WORD_1
	v_mul_f16_sdwa v24, v23, v0 dst_sel:DWORD dst_unused:UNUSED_PAD src0_sel:DWORD src1_sel:WORD_1
	v_fmac_f16_e32 v25, v23, v0
	global_load_dword v23, v36, s[6:7]
	v_fma_f16 v24, v1, v0, -v24
	ds_read2st64_b32 v[0:1], v50 offset0:24 offset1:26
	s_waitcnt lgkmcnt(0)
	v_lshrrev_b32_e32 v26, 16, v0
	s_waitcnt vmcnt(0)
	v_mul_f16_sdwa v27, v0, v23 dst_sel:DWORD dst_unused:UNUSED_PAD src0_sel:DWORD src1_sel:WORD_1
	v_fmac_f16_e32 v27, v26, v23
	v_mul_f16_sdwa v26, v26, v23 dst_sel:DWORD dst_unused:UNUSED_PAD src0_sel:DWORD src1_sel:WORD_1
	v_fma_f16 v23, v0, v23, -v26
	global_load_dword v0, v39, s[6:7]
	v_lshrrev_b32_e32 v26, 16, v1
	s_waitcnt vmcnt(0)
	v_mul_f16_sdwa v29, v1, v0 dst_sel:DWORD dst_unused:UNUSED_PAD src0_sel:DWORD src1_sel:WORD_1
	v_mul_f16_sdwa v28, v26, v0 dst_sel:DWORD dst_unused:UNUSED_PAD src0_sel:DWORD src1_sel:WORD_1
	v_fmac_f16_e32 v29, v26, v0
	s_clause 0x2
	global_load_dword v26, v35, s[6:7]
	global_load_dword v30, v86, s[6:7]
	;; [unrolled: 1-line block ×3, first 2 shown]
	v_fma_f16 v28, v1, v0, -v28
	ds_read2st64_b32 v[0:1], v50 offset0:36 offset1:38
	s_waitcnt lgkmcnt(0)
	v_lshrrev_b32_e32 v36, 16, v0
	v_lshrrev_b32_e32 v41, 16, v1
	s_waitcnt vmcnt(2)
	v_mul_f16_sdwa v38, v0, v26 dst_sel:DWORD dst_unused:UNUSED_PAD src0_sel:DWORD src1_sel:WORD_1
	v_fmac_f16_e32 v38, v36, v26
	v_mul_f16_sdwa v36, v36, v26 dst_sel:DWORD dst_unused:UNUSED_PAD src0_sel:DWORD src1_sel:WORD_1
	v_fma_f16 v26, v0, v26, -v36
	s_clause 0x6
	global_load_dword v0, v33, s[6:7]
	global_load_dword v33, v37, s[6:7]
	;; [unrolled: 1-line block ×7, first 2 shown]
	s_waitcnt vmcnt(6)
	v_mul_f16_sdwa v73, v41, v0 dst_sel:DWORD dst_unused:UNUSED_PAD src0_sel:DWORD src1_sel:WORD_1
	v_mul_f16_sdwa v78, v1, v0 dst_sel:DWORD dst_unused:UNUSED_PAD src0_sel:DWORD src1_sel:WORD_1
	v_fma_f16 v73, v1, v0, -v73
	v_fmac_f16_e32 v78, v41, v0
	ds_read2st64_b32 v[0:1], v50 offset0:48 offset1:50
	s_waitcnt lgkmcnt(0)
	v_lshrrev_b32_e32 v41, 16, v0
	s_waitcnt vmcnt(0)
	v_mul_f16_sdwa v80, v0, v31 dst_sel:DWORD dst_unused:UNUSED_PAD src0_sel:DWORD src1_sel:WORD_1
	v_fmac_f16_e32 v80, v41, v31
	v_mul_f16_sdwa v41, v41, v31 dst_sel:DWORD dst_unused:UNUSED_PAD src0_sel:DWORD src1_sel:WORD_1
	v_fma_f16 v31, v0, v31, -v41
	global_load_dword v0, v32, s[6:7]
	v_lshrrev_b32_e32 v32, 16, v1
	s_waitcnt vmcnt(0)
	v_mul_f16_sdwa v41, v32, v0 dst_sel:DWORD dst_unused:UNUSED_PAD src0_sel:DWORD src1_sel:WORD_1
	v_mul_f16_sdwa v81, v1, v0 dst_sel:DWORD dst_unused:UNUSED_PAD src0_sel:DWORD src1_sel:WORD_1
	v_fma_f16 v41, v1, v0, -v41
	v_fmac_f16_e32 v81, v32, v0
	ds_read2st64_b32 v[0:1], v50 offset0:4 offset1:6
	s_waitcnt lgkmcnt(0)
	v_lshrrev_b32_e32 v32, 16, v1
	v_mul_f16_sdwa v84, v1, v10 dst_sel:DWORD dst_unused:UNUSED_PAD src0_sel:DWORD src1_sel:WORD_1
	v_mul_f16_sdwa v85, v0, v4 dst_sel:DWORD dst_unused:UNUSED_PAD src0_sel:DWORD src1_sel:WORD_1
	v_fmac_f16_e32 v84, v32, v10
	v_mul_f16_sdwa v32, v32, v10 dst_sel:DWORD dst_unused:UNUSED_PAD src0_sel:DWORD src1_sel:WORD_1
	v_fma_f16 v10, v1, v10, -v32
	v_lshrrev_b32_e32 v1, 16, v0
	v_mul_f16_sdwa v32, v1, v4 dst_sel:DWORD dst_unused:UNUSED_PAD src0_sel:DWORD src1_sel:WORD_1
	v_fmac_f16_e32 v85, v1, v4
	v_fma_f16 v32, v0, v4, -v32
	ds_read2st64_b32 v[0:1], v50 offset0:8 offset1:10
	s_waitcnt lgkmcnt(0)
	v_lshrrev_b32_e32 v4, 16, v0
	v_mul_f16_sdwa v86, v0, v22 dst_sel:DWORD dst_unused:UNUSED_PAD src0_sel:DWORD src1_sel:WORD_1
	v_fmac_f16_e32 v86, v4, v22
	v_mul_f16_sdwa v4, v4, v22 dst_sel:DWORD dst_unused:UNUSED_PAD src0_sel:DWORD src1_sel:WORD_1
	v_fma_f16 v4, v0, v22, -v4
	global_load_dword v0, v34, s[6:7]
	v_lshrrev_b32_e32 v22, 16, v1
	s_waitcnt vmcnt(0)
	v_mul_f16_sdwa v34, v22, v0 dst_sel:DWORD dst_unused:UNUSED_PAD src0_sel:DWORD src1_sel:WORD_1
	v_mul_f16_sdwa v87, v1, v0 dst_sel:DWORD dst_unused:UNUSED_PAD src0_sel:DWORD src1_sel:WORD_1
	v_fma_f16 v34, v1, v0, -v34
	v_fmac_f16_e32 v87, v22, v0
	ds_read2st64_b32 v[0:1], v50 offset0:16 offset1:18
	s_waitcnt lgkmcnt(0)
	v_lshrrev_b32_e32 v22, 16, v1
	v_mul_f16_sdwa v88, v1, v9 dst_sel:DWORD dst_unused:UNUSED_PAD src0_sel:DWORD src1_sel:WORD_1
	v_mul_f16_sdwa v248, v0, v33 dst_sel:DWORD dst_unused:UNUSED_PAD src0_sel:DWORD src1_sel:WORD_1
	v_fmac_f16_e32 v88, v22, v9
	v_mul_f16_sdwa v22, v22, v9 dst_sel:DWORD dst_unused:UNUSED_PAD src0_sel:DWORD src1_sel:WORD_1
	v_fma_f16 v9, v1, v9, -v22
	v_lshrrev_b32_e32 v1, 16, v0
	v_mul_f16_sdwa v22, v1, v33 dst_sel:DWORD dst_unused:UNUSED_PAD src0_sel:DWORD src1_sel:WORD_1
	v_fmac_f16_e32 v248, v1, v33
	v_fma_f16 v22, v0, v33, -v22
	ds_read2st64_b32 v[0:1], v50 offset0:20 offset1:22
	s_waitcnt lgkmcnt(0)
	v_lshrrev_b32_e32 v33, 16, v0
	v_mul_f16_sdwa v249, v0, v11 dst_sel:DWORD dst_unused:UNUSED_PAD src0_sel:DWORD src1_sel:WORD_1
	v_mul_f16_sdwa v250, v1, v36 dst_sel:DWORD dst_unused:UNUSED_PAD src0_sel:DWORD src1_sel:WORD_1
	v_fmac_f16_e32 v249, v33, v11
	v_mul_f16_sdwa v33, v33, v11 dst_sel:DWORD dst_unused:UNUSED_PAD src0_sel:DWORD src1_sel:WORD_1
	v_fma_f16 v11, v0, v11, -v33
	v_lshrrev_b32_e32 v0, 16, v1
	v_mul_f16_sdwa v33, v0, v36 dst_sel:DWORD dst_unused:UNUSED_PAD src0_sel:DWORD src1_sel:WORD_1
	v_fmac_f16_e32 v250, v0, v36
	v_fma_f16 v33, v1, v36, -v33
	ds_read2st64_b32 v[0:1], v50 offset0:28 offset1:30
	s_waitcnt lgkmcnt(0)
	v_lshrrev_b32_e32 v36, 16, v1
	v_mul_f16_sdwa v251, v1, v8 dst_sel:DWORD dst_unused:UNUSED_PAD src0_sel:DWORD src1_sel:WORD_1
	v_fmac_f16_e32 v251, v36, v8
	v_mul_f16_sdwa v36, v36, v8 dst_sel:DWORD dst_unused:UNUSED_PAD src0_sel:DWORD src1_sel:WORD_1
	v_fma_f16 v8, v1, v8, -v36
	s_clause 0x5
	global_load_dword v1, v75, s[6:7]
	global_load_dword v36, v76, s[6:7]
	;; [unrolled: 1-line block ×6, first 2 shown]
	v_lshrrev_b32_e32 v82, 16, v0
	s_mov_b32 s6, 0x11111111
	s_mov_b32 s7, 0x3f311111
	s_waitcnt vmcnt(5)
	v_mul_f16_sdwa v83, v82, v1 dst_sel:DWORD dst_unused:UNUSED_PAD src0_sel:DWORD src1_sel:WORD_1
	v_mul_f16_sdwa v252, v0, v1 dst_sel:DWORD dst_unused:UNUSED_PAD src0_sel:DWORD src1_sel:WORD_1
	v_fma_f16 v83, v0, v1, -v83
	v_fmac_f16_e32 v252, v82, v1
	v_pack_b32_f16 v0, v2, v6
	v_pack_b32_f16 v1, v5, v7
	;; [unrolled: 1-line block ×3, first 2 shown]
	ds_write2st64_b32 v50, v0, v1 offset1:2
	v_pack_b32_f16 v0, v3, v12
	v_pack_b32_f16 v1, v24, v25
	ds_write2st64_b32 v50, v0, v1 offset0:12 offset1:14
	v_pack_b32_f16 v0, v23, v27
	v_pack_b32_f16 v1, v28, v29
	ds_write2st64_b32 v50, v0, v1 offset0:24 offset1:26
	;; [unrolled: 3-line block ×8, first 2 shown]
	ds_read2st64_b32 v[0:1], v50 offset0:32 offset1:34
	s_waitcnt lgkmcnt(0)
	v_lshrrev_b32_e32 v2, 16, v0
	v_mul_f16_sdwa v3, v0, v40 dst_sel:DWORD dst_unused:UNUSED_PAD src0_sel:DWORD src1_sel:WORD_1
	v_fmac_f16_e32 v3, v2, v40
	v_mul_f16_sdwa v2, v2, v40 dst_sel:DWORD dst_unused:UNUSED_PAD src0_sel:DWORD src1_sel:WORD_1
	v_fma_f16 v0, v0, v40, -v2
	v_lshrrev_b32_e32 v2, 16, v1
	v_pack_b32_f16 v0, v0, v3
	s_waitcnt vmcnt(4)
	v_mul_f16_sdwa v4, v2, v36 dst_sel:DWORD dst_unused:UNUSED_PAD src0_sel:DWORD src1_sel:WORD_1
	v_fma_f16 v4, v1, v36, -v4
	v_mul_f16_sdwa v1, v1, v36 dst_sel:DWORD dst_unused:UNUSED_PAD src0_sel:DWORD src1_sel:WORD_1
	v_fmac_f16_e32 v1, v2, v36
	v_pack_b32_f16 v2, v8, v251
	v_pack_b32_f16 v1, v4, v1
	ds_write2st64_b32 v50, v5, v2 offset0:28 offset1:30
	ds_write2st64_b32 v50, v0, v1 offset0:32 offset1:34
	ds_read2st64_b32 v[0:1], v50 offset0:40 offset1:42
	s_waitcnt lgkmcnt(0)
	v_lshrrev_b32_e32 v2, 16, v1
	v_mul_f16_sdwa v3, v1, v35 dst_sel:DWORD dst_unused:UNUSED_PAD src0_sel:DWORD src1_sel:WORD_1
	s_waitcnt vmcnt(3)
	v_mul_f16_sdwa v5, v0, v75 dst_sel:DWORD dst_unused:UNUSED_PAD src0_sel:DWORD src1_sel:WORD_1
	v_fmac_f16_e32 v3, v2, v35
	v_mul_f16_sdwa v2, v2, v35 dst_sel:DWORD dst_unused:UNUSED_PAD src0_sel:DWORD src1_sel:WORD_1
	v_fma_f16 v2, v1, v35, -v2
	v_lshrrev_b32_e32 v1, 16, v0
	v_pack_b32_f16 v2, v2, v3
	v_mul_f16_sdwa v4, v1, v75 dst_sel:DWORD dst_unused:UNUSED_PAD src0_sel:DWORD src1_sel:WORD_1
	v_fmac_f16_e32 v5, v1, v75
	v_fma_f16 v4, v0, v75, -v4
	ds_read2st64_b32 v[0:1], v50 offset0:44 offset1:46
	v_pack_b32_f16 v3, v4, v5
	ds_write2st64_b32 v50, v3, v2 offset0:40 offset1:42
	s_waitcnt lgkmcnt(1)
	v_lshrrev_b32_e32 v6, 16, v0
	v_mul_f16_sdwa v7, v0, v39 dst_sel:DWORD dst_unused:UNUSED_PAD src0_sel:DWORD src1_sel:WORD_1
	v_fmac_f16_e32 v7, v6, v39
	v_mul_f16_sdwa v6, v6, v39 dst_sel:DWORD dst_unused:UNUSED_PAD src0_sel:DWORD src1_sel:WORD_1
	v_fma_f16 v0, v0, v39, -v6
	v_lshrrev_b32_e32 v6, 16, v1
	v_pack_b32_f16 v0, v0, v7
	s_waitcnt vmcnt(2)
	v_mul_f16_sdwa v8, v6, v76 dst_sel:DWORD dst_unused:UNUSED_PAD src0_sel:DWORD src1_sel:WORD_1
	v_fma_f16 v8, v1, v76, -v8
	v_mul_f16_sdwa v1, v1, v76 dst_sel:DWORD dst_unused:UNUSED_PAD src0_sel:DWORD src1_sel:WORD_1
	v_fmac_f16_e32 v1, v6, v76
	v_pack_b32_f16 v1, v8, v1
	ds_write2st64_b32 v50, v0, v1 offset0:44 offset1:46
	ds_read2st64_b32 v[0:1], v50 offset0:52 offset1:54
	s_waitcnt lgkmcnt(0)
	v_lshrrev_b32_e32 v2, 16, v1
	v_mul_f16_sdwa v3, v1, v30 dst_sel:DWORD dst_unused:UNUSED_PAD src0_sel:DWORD src1_sel:WORD_1
	s_waitcnt vmcnt(1)
	v_mul_f16_sdwa v5, v0, v77 dst_sel:DWORD dst_unused:UNUSED_PAD src0_sel:DWORD src1_sel:WORD_1
	v_fmac_f16_e32 v3, v2, v30
	v_mul_f16_sdwa v2, v2, v30 dst_sel:DWORD dst_unused:UNUSED_PAD src0_sel:DWORD src1_sel:WORD_1
	v_fma_f16 v2, v1, v30, -v2
	v_lshrrev_b32_e32 v1, 16, v0
	v_pack_b32_f16 v2, v2, v3
	v_mul_f16_sdwa v4, v1, v77 dst_sel:DWORD dst_unused:UNUSED_PAD src0_sel:DWORD src1_sel:WORD_1
	v_fmac_f16_e32 v5, v1, v77
	v_fma_f16 v4, v0, v77, -v4
	ds_read2st64_b32 v[0:1], v50 offset0:56 offset1:58
	v_pack_b32_f16 v3, v4, v5
	ds_write2st64_b32 v50, v3, v2 offset0:52 offset1:54
	s_waitcnt lgkmcnt(1)
	v_lshrrev_b32_e32 v6, 16, v0
	v_mul_f16_sdwa v7, v0, v37 dst_sel:DWORD dst_unused:UNUSED_PAD src0_sel:DWORD src1_sel:WORD_1
	v_fmac_f16_e32 v7, v6, v37
	v_mul_f16_sdwa v6, v6, v37 dst_sel:DWORD dst_unused:UNUSED_PAD src0_sel:DWORD src1_sel:WORD_1
	v_fma_f16 v0, v0, v37, -v6
	v_lshrrev_b32_e32 v6, 16, v1
	v_pack_b32_f16 v0, v0, v7
	s_waitcnt vmcnt(0)
	v_mul_f16_sdwa v8, v6, v79 dst_sel:DWORD dst_unused:UNUSED_PAD src0_sel:DWORD src1_sel:WORD_1
	v_fma_f16 v8, v1, v79, -v8
	v_mul_f16_sdwa v1, v1, v79 dst_sel:DWORD dst_unused:UNUSED_PAD src0_sel:DWORD src1_sel:WORD_1
	v_fmac_f16_e32 v1, v6, v79
	v_pack_b32_f16 v1, v8, v1
	ds_write2st64_b32 v50, v0, v1 offset0:56 offset1:58
	s_waitcnt lgkmcnt(0)
	s_barrier
	buffer_gl0_inv
	ds_read2st64_b32 v[32:33], v50 offset0:36 offset1:38
	ds_read2st64_b32 v[34:35], v50 offset0:48 offset1:50
	;; [unrolled: 1-line block ×4, first 2 shown]
	ds_read2st64_b32 v[36:37], v50 offset1:2
	ds_read2st64_b32 v[22:23], v50 offset0:40 offset1:42
	ds_read2st64_b32 v[24:25], v50 offset0:52 offset1:54
	ds_read2st64_b32 v[28:29], v50 offset0:16 offset1:18
	ds_read2st64_b32 v[30:31], v50 offset0:28 offset1:30
	ds_read2st64_b32 v[26:27], v50 offset0:4 offset1:6
	s_waitcnt lgkmcnt(8)
	v_sub_f16_e32 v0, v32, v34
	s_waitcnt lgkmcnt(6)
	v_sub_f16_e32 v1, v40, v38
	v_sub_f16_sdwa v77, v40, v32 dst_sel:DWORD dst_unused:UNUSED_PAD src0_sel:WORD_1 src1_sel:WORD_1
	v_sub_f16_sdwa v78, v38, v34 dst_sel:DWORD dst_unused:UNUSED_PAD src0_sel:WORD_1 src1_sel:WORD_1
	s_waitcnt lgkmcnt(5)
	v_lshrrev_b32_e32 v75, 16, v36
	v_sub_f16_e32 v80, v40, v32
	v_add_f16_e32 v0, v1, v0
	v_add_f16_e32 v1, v38, v34
	v_sub_f16_e32 v81, v38, v34
	s_waitcnt lgkmcnt(1)
	v_sub_f16_sdwa v83, v31, v23 dst_sel:DWORD dst_unused:UNUSED_PAD src0_sel:WORD_1 src1_sel:WORD_1
	v_sub_f16_sdwa v84, v29, v25 dst_sel:DWORD dst_unused:UNUSED_PAD src0_sel:WORD_1 src1_sel:WORD_1
	s_waitcnt lgkmcnt(0)
	v_lshrrev_b32_e32 v3, 16, v27
	v_fma_f16 v73, -0.5, v1, v36
	v_sub_f16_sdwa v1, v32, v34 dst_sel:DWORD dst_unused:UNUSED_PAD src0_sel:WORD_1 src1_sel:WORD_1
	v_sub_f16_sdwa v4, v23, v25 dst_sel:DWORD dst_unused:UNUSED_PAD src0_sel:WORD_1 src1_sel:WORD_1
	v_sub_f16_e32 v86, v31, v23
	v_sub_f16_e32 v88, v29, v25
	v_fmamk_f16 v79, v77, 0x3b9c, v73
	v_fmac_f16_e32 v73, 0xbb9c, v77
	v_fmac_f16_e32 v79, 0xb8b4, v78
	;; [unrolled: 1-line block ×5, first 2 shown]
	v_add_f16_sdwa v0, v40, v32 dst_sel:DWORD dst_unused:UNUSED_PAD src0_sel:WORD_1 src1_sel:WORD_1
	v_fma_f16 v76, -0.5, v0, v75
	v_add_f16_sdwa v0, v38, v34 dst_sel:DWORD dst_unused:UNUSED_PAD src0_sel:WORD_1 src1_sel:WORD_1
	v_fmac_f16_e32 v75, -0.5, v0
	v_sub_f16_sdwa v0, v40, v38 dst_sel:DWORD dst_unused:UNUSED_PAD src0_sel:WORD_1 src1_sel:WORD_1
	v_fmamk_f16 v82, v80, 0xbb9c, v75
	v_fmac_f16_e32 v75, 0x3b9c, v80
	v_add_f16_e32 v0, v0, v1
	v_sub_f16_e32 v1, v31, v29
	v_fmac_f16_e32 v82, 0x38b4, v81
	v_fmac_f16_e32 v75, 0xb8b4, v81
	;; [unrolled: 1-line block ×4, first 2 shown]
	v_sub_f16_e32 v0, v23, v25
	v_add_f16_e32 v0, v1, v0
	v_add_f16_e32 v1, v29, v25
	v_fma_f16 v1, -0.5, v1, v27
	v_fmamk_f16 v2, v83, 0x3b9c, v1
	v_fmac_f16_e32 v1, 0xbb9c, v83
	v_fmac_f16_e32 v2, 0xb8b4, v84
	;; [unrolled: 1-line block ×5, first 2 shown]
	v_add_f16_sdwa v0, v31, v23 dst_sel:DWORD dst_unused:UNUSED_PAD src0_sel:WORD_1 src1_sel:WORD_1
	v_fma_f16 v85, -0.5, v0, v3
	v_add_f16_sdwa v0, v29, v25 dst_sel:DWORD dst_unused:UNUSED_PAD src0_sel:WORD_1 src1_sel:WORD_1
	v_fmac_f16_e32 v3, -0.5, v0
	v_sub_f16_sdwa v0, v31, v29 dst_sel:DWORD dst_unused:UNUSED_PAD src0_sel:WORD_1 src1_sel:WORD_1
	v_add_f16_e32 v0, v0, v4
	v_fmamk_f16 v4, v86, 0xbb9c, v3
	v_fmac_f16_e32 v3, 0x3b9c, v86
	v_fmac_f16_e32 v4, 0x38b4, v88
	;; [unrolled: 1-line block ×5, first 2 shown]
	v_mul_f16_e32 v12, 0xbb9c, v4
	v_mul_f16_e32 v87, 0xbb9c, v3
	;; [unrolled: 1-line block ×4, first 2 shown]
	v_sub_f16_e32 v3, v38, v40
	v_fmac_f16_e32 v12, 0x34f2, v2
	v_fmac_f16_e32 v87, 0xb4f2, v1
	;; [unrolled: 1-line block ×4, first 2 shown]
	v_add_f16_e32 v0, v73, v87
	v_add_f16_e32 v1, v75, v248
	;; [unrolled: 1-line block ×3, first 2 shown]
	v_pack_b32_f16 v1, v0, v1
	v_add_f16_e32 v0, v79, v12
	v_pack_b32_f16 v0, v0, v2
	v_sub_f16_e32 v2, v34, v32
	v_add_f16_e32 v250, v3, v2
	v_sub_f16_sdwa v2, v38, v40 dst_sel:DWORD dst_unused:UNUSED_PAD src0_sel:WORD_1 src1_sel:WORD_1
	v_sub_f16_sdwa v3, v34, v32 dst_sel:DWORD dst_unused:UNUSED_PAD src0_sel:WORD_1 src1_sel:WORD_1
	v_add_f16_e32 v251, v2, v3
	v_sub_f16_e32 v2, v25, v23
	v_sub_f16_e32 v3, v29, v31
	v_add_f16_e32 v252, v3, v2
	v_sub_f16_sdwa v2, v29, v31 dst_sel:DWORD dst_unused:UNUSED_PAD src0_sel:WORD_1 src1_sel:WORD_1
	v_sub_f16_sdwa v3, v25, v23 dst_sel:DWORD dst_unused:UNUSED_PAD src0_sel:WORD_1 src1_sel:WORD_1
	v_add_f16_e32 v253, v2, v3
	v_add_f16_e32 v2, v31, v23
	v_fma_f16 v254, -0.5, v2, v27
	v_fmamk_f16 v2, v88, 0x3b9c, v85
	v_fmac_f16_e32 v85, 0xbb9c, v88
	v_fmamk_f16 v3, v84, 0xbb9c, v254
	v_fmac_f16_e32 v2, 0x38b4, v86
	v_fmac_f16_e32 v254, 0x3b9c, v84
	;; [unrolled: 1-line block ×8, first 2 shown]
	v_mul_f16_e32 v255, 0xb8b4, v2
	v_fmac_f16_e32 v254, 0x34f2, v252
	v_mul_f16_e32 v129, 0x38b4, v3
	v_fmac_f16_e32 v255, 0x3a79, v3
	v_pk_add_f16 v3, v27, v29
	v_fmamk_f16 v27, v81, 0x3b9c, v76
	v_fmac_f16_e32 v76, 0xbb9c, v81
	v_fmac_f16_e32 v129, 0x3a79, v2
	v_add_f16_e32 v2, v40, v32
	v_pk_add_f16 v3, v3, v31
	v_fmac_f16_e32 v27, 0x38b4, v80
	v_fmac_f16_e32 v76, 0xb8b4, v80
	v_sub_f16_sdwa v29, v41, v39 dst_sel:DWORD dst_unused:UNUSED_PAD src0_sel:WORD_1 src1_sel:WORD_1
	v_fma_f16 v241, -0.5, v2, v36
	v_pk_add_f16 v2, v36, v38
	v_pk_add_f16 v3, v3, v23
	v_fmac_f16_e32 v27, 0x34f2, v251
	v_fmac_f16_e32 v76, 0x34f2, v251
	v_fmamk_f16 v246, v78, 0xbb9c, v241
	v_pk_add_f16 v2, v2, v40
	v_pk_add_f16 v25, v3, v25
	v_add_f16_e32 v3, v27, v129
	v_fmac_f16_e32 v241, 0x3b9c, v78
	v_fmac_f16_e32 v246, 0xb8b4, v77
	v_pk_add_f16 v2, v2, v32
	ds_read2st64_b32 v[4:5], v50 offset0:8 offset1:10
	ds_read2st64_b32 v[6:7], v50 offset0:20 offset1:22
	;; [unrolled: 1-line block ×5, first 2 shown]
	s_waitcnt lgkmcnt(0)
	s_barrier
	v_fmac_f16_e32 v246, 0x34f2, v250
	v_pk_add_f16 v23, v2, v34
	buffer_gl0_inv
	v_fmac_f16_e32 v241, 0x38b4, v77
	v_add_f16_e32 v36, v39, v35
	v_add_f16_e32 v2, v246, v255
	v_sub_f16_sdwa v34, v39, v35 dst_sel:DWORD dst_unused:UNUSED_PAD src0_sel:WORD_1 src1_sel:WORD_1
	v_sub_f16_e32 v38, v39, v35
	v_fmac_f16_e32 v241, 0x34f2, v250
	v_fma_f16 v36, -0.5, v36, v37
	v_pack_b32_f16 v3, v2, v3
	v_pk_add_f16 v2, v23, v25
	v_sub_f16_e32 v40, v35, v33
	ds_write2_b64 v89, v[2:3], v[0:1] offset1:1
	v_sub_f16_e32 v1, v79, v12
	v_sub_f16_e32 v3, v27, v129
	v_mul_f16_e32 v12, 0xb8b4, v85
	v_mul_f16_e32 v27, 0xba79, v85
	v_sub_f16_e32 v0, v246, v255
	v_sub_f16_e32 v2, v82, v249
	v_sub_f16_sdwa v78, v10, v31 dst_sel:DWORD dst_unused:UNUSED_PAD src0_sel:WORD_1 src1_sel:WORD_1
	v_fmac_f16_e32 v12, 0xba79, v254
	v_fmac_f16_e32 v27, 0x38b4, v254
	v_pack_b32_f16 v0, v0, v3
	v_pack_b32_f16 v1, v1, v2
	v_pk_add_f16 v3, v23, v25 neg_lo:[0,1] neg_hi:[0,1]
	v_add_f16_e32 v2, v241, v12
	v_add_f16_e32 v23, v76, v27
	v_sub_f16_e32 v25, v41, v33
	v_sub_f16_e32 v80, v6, v31
	v_pack_b32_f16 v2, v2, v23
	v_add_f16_sdwa v23, v41, v33 dst_sel:DWORD dst_unused:UNUSED_PAD src0_sel:WORD_1 src1_sel:WORD_1
	ds_write2_b64 v89, v[2:3], v[0:1] offset0:2 offset1:3
	v_sub_f16_e32 v0, v73, v87
	v_sub_f16_e32 v1, v241, v12
	;; [unrolled: 1-line block ×4, first 2 shown]
	v_sub_f16_sdwa v12, v41, v33 dst_sel:DWORD dst_unused:UNUSED_PAD src0_sel:WORD_1 src1_sel:WORD_1
	v_sub_f16_sdwa v27, v39, v41 dst_sel:DWORD dst_unused:UNUSED_PAD src0_sel:WORD_1 src1_sel:WORD_1
	;; [unrolled: 1-line block ×3, first 2 shown]
	v_pack_b32_f16 v1, v1, v2
	v_pack_b32_f16 v0, v0, v3
	v_sub_f16_e32 v2, v39, v41
	v_sub_f16_e32 v3, v41, v39
	v_lshrrev_b32_e32 v76, 16, v4
	v_add_f16_e32 v27, v27, v73
	ds_write_b64 v89, v[0:1] offset:32
	v_pk_add_f16 v0, v37, v39
	v_add_f16_e32 v1, v41, v33
	v_add_f16_sdwa v39, v39, v35 dst_sel:DWORD dst_unused:UNUSED_PAD src0_sel:WORD_1 src1_sel:WORD_1
	v_add_f16_e32 v40, v2, v40
	v_sub_f16_e32 v2, v31, v10
	v_pk_add_f16 v0, v0, v41
	v_fma_f16 v75, -0.5, v1, v37
	v_lshrrev_b32_e32 v37, 16, v37
	v_sub_f16_e32 v41, v33, v35
	v_sub_f16_e32 v1, v8, v6
	v_pk_add_f16 v0, v0, v33
	v_sub_f16_sdwa v33, v33, v35 dst_sel:DWORD dst_unused:UNUSED_PAD src0_sel:WORD_1 src1_sel:WORD_1
	v_fma_f16 v23, -0.5, v23, v37
	v_fmac_f16_e32 v37, -0.5, v39
	v_fmamk_f16 v39, v12, 0x3b9c, v36
	v_fmac_f16_e32 v36, 0xbb9c, v12
	v_pk_add_f16 v35, v0, v35
	v_add_f16_e32 v0, v3, v41
	v_sub_f16_sdwa v41, v6, v31 dst_sel:DWORD dst_unused:UNUSED_PAD src0_sel:WORD_1 src1_sel:WORD_1
	v_fmac_f16_e32 v39, 0xb8b4, v34
	v_fmac_f16_e32 v36, 0x38b4, v34
	v_fmamk_f16 v87, v34, 0xbb9c, v75
	v_fmac_f16_e32 v75, 0x3b9c, v34
	v_sub_f16_sdwa v34, v9, v11 dst_sel:DWORD dst_unused:UNUSED_PAD src0_sel:WORD_1 src1_sel:WORD_1
	v_fmac_f16_e32 v39, 0x34f2, v0
	v_fmac_f16_e32 v36, 0x34f2, v0
	v_add_f16_e32 v0, v29, v33
	v_fmamk_f16 v29, v25, 0xbb9c, v37
	v_fmac_f16_e32 v37, 0x3b9c, v25
	v_sub_f16_sdwa v33, v8, v10 dst_sel:DWORD dst_unused:UNUSED_PAD src0_sel:WORD_1 src1_sel:WORD_1
	v_fmac_f16_e32 v87, 0xb8b4, v12
	v_fmac_f16_e32 v75, 0x38b4, v12
	v_fmac_f16_e32 v29, 0x38b4, v38
	v_fmac_f16_e32 v37, 0xb8b4, v38
	v_sub_f16_sdwa v12, v30, v28 dst_sel:DWORD dst_unused:UNUSED_PAD src0_sel:WORD_1 src1_sel:WORD_1
	v_fmac_f16_e32 v87, 0x34f2, v40
	v_fmac_f16_e32 v75, 0x34f2, v40
	;; [unrolled: 1-line block ×4, first 2 shown]
	v_sub_f16_e32 v0, v10, v31
	v_sub_f16_sdwa v40, v7, v32 dst_sel:DWORD dst_unused:UNUSED_PAD src0_sel:WORD_1 src1_sel:WORD_1
	v_add_f16_e32 v0, v1, v0
	v_add_f16_e32 v1, v6, v31
	v_fma_f16 v1, -0.5, v1, v4
	v_fmamk_f16 v3, v33, 0x3b9c, v1
	v_fmac_f16_e32 v1, 0xbb9c, v33
	v_fmac_f16_e32 v3, 0xb8b4, v41
	;; [unrolled: 1-line block ×5, first 2 shown]
	v_add_f16_sdwa v0, v8, v10 dst_sel:DWORD dst_unused:UNUSED_PAD src0_sel:WORD_1 src1_sel:WORD_1
	v_fma_f16 v77, -0.5, v0, v76
	v_add_f16_sdwa v0, v6, v31 dst_sel:DWORD dst_unused:UNUSED_PAD src0_sel:WORD_1 src1_sel:WORD_1
	v_fmac_f16_e32 v76, -0.5, v0
	v_sub_f16_sdwa v0, v8, v6 dst_sel:DWORD dst_unused:UNUSED_PAD src0_sel:WORD_1 src1_sel:WORD_1
	v_add_f16_e32 v0, v0, v78
	v_sub_f16_e32 v78, v8, v10
	v_fmamk_f16 v79, v78, 0xbb9c, v76
	v_fmac_f16_e32 v76, 0x3b9c, v78
	v_fmac_f16_e32 v79, 0x38b4, v80
	;; [unrolled: 1-line block ×5, first 2 shown]
	v_mul_f16_e32 v82, 0xbb9c, v79
	v_mul_f16_e32 v81, 0xbb9c, v76
	;; [unrolled: 1-line block ×4, first 2 shown]
	v_fmac_f16_e32 v82, 0x34f2, v3
	v_fmac_f16_e32 v81, 0xb4f2, v1
	;; [unrolled: 1-line block ×4, first 2 shown]
	v_add_f16_e32 v0, v36, v81
	v_add_f16_e32 v1, v37, v76
	;; [unrolled: 1-line block ×3, first 2 shown]
	v_pack_b32_f16 v1, v0, v1
	v_add_f16_e32 v0, v39, v82
	v_pack_b32_f16 v0, v0, v3
	v_sub_f16_e32 v3, v6, v8
	v_add_f16_e32 v73, v3, v2
	v_sub_f16_sdwa v2, v6, v8 dst_sel:DWORD dst_unused:UNUSED_PAD src0_sel:WORD_1 src1_sel:WORD_1
	v_sub_f16_sdwa v3, v31, v10 dst_sel:DWORD dst_unused:UNUSED_PAD src0_sel:WORD_1 src1_sel:WORD_1
	v_add_f16_e32 v83, v2, v3
	v_add_f16_e32 v2, v8, v10
	v_fma_f16 v84, -0.5, v2, v4
	v_fmamk_f16 v2, v80, 0x3b9c, v77
	v_fmac_f16_e32 v77, 0xbb9c, v80
	v_fmamk_f16 v3, v41, 0xbb9c, v84
	v_fmac_f16_e32 v2, 0x38b4, v78
	v_fmac_f16_e32 v84, 0x3b9c, v41
	;; [unrolled: 1-line block ×3, first 2 shown]
	v_add_f16_e32 v41, v7, v32
	v_fmac_f16_e32 v3, 0xb8b4, v33
	v_fmac_f16_e32 v2, 0x34f2, v83
	;; [unrolled: 1-line block ×4, first 2 shown]
	v_add_f16_e32 v33, v9, v11
	v_fmac_f16_e32 v3, 0x34f2, v73
	v_mul_f16_e32 v85, 0xb8b4, v2
	v_fmac_f16_e32 v84, 0x34f2, v73
	v_sub_f16_e32 v73, v7, v32
	v_mul_f16_e32 v86, 0x38b4, v3
	v_fmac_f16_e32 v85, 0x3a79, v3
	v_fmac_f16_e32 v86, 0x3a79, v2
	v_pk_add_f16 v2, v4, v6
	v_fmamk_f16 v4, v38, 0x3b9c, v23
	v_fmac_f16_e32 v23, 0xbb9c, v38
	v_sub_f16_e32 v38, v9, v11
	v_pk_add_f16 v2, v2, v8
	v_fmac_f16_e32 v4, 0x38b4, v25
	v_fmac_f16_e32 v23, 0xb8b4, v25
	v_mul_f16_e32 v8, 0xba79, v77
	v_add_f16_e32 v25, v28, v24
	v_pk_add_f16 v2, v2, v10
	v_fmac_f16_e32 v4, 0x34f2, v27
	v_fmac_f16_e32 v23, 0x34f2, v27
	;; [unrolled: 1-line block ×3, first 2 shown]
	v_sub_f16_sdwa v10, v28, v30 dst_sel:DWORD dst_unused:UNUSED_PAD src0_sel:WORD_1 src1_sel:WORD_1
	v_pk_add_f16 v6, v2, v31
	v_add_f16_e32 v2, v87, v85
	v_add_f16_e32 v3, v4, v86
	v_sub_f16_e32 v27, v28, v24
	v_sub_f16_sdwa v31, v24, v22 dst_sel:DWORD dst_unused:UNUSED_PAD src0_sel:WORD_1 src1_sel:WORD_1
	v_fma_f16 v25, -0.5, v25, v26
	v_pack_b32_f16 v3, v2, v3
	v_pk_add_f16 v2, v35, v6
	v_add_f16_e32 v10, v10, v31
	ds_write2_b64 v90, v[2:3], v[0:1] offset1:1
	v_sub_f16_e32 v3, v4, v86
	v_mul_f16_e32 v4, 0xb8b4, v77
	v_sub_f16_e32 v0, v87, v85
	v_sub_f16_e32 v1, v39, v82
	;; [unrolled: 1-line block ×4, first 2 shown]
	v_fmac_f16_e32 v4, 0xba79, v84
	v_pack_b32_f16 v0, v0, v3
	v_pk_add_f16 v3, v35, v6 neg_lo:[0,1] neg_hi:[0,1]
	v_pack_b32_f16 v1, v1, v2
	v_add_f16_e32 v6, v23, v8
	v_add_f16_e32 v2, v75, v4
	v_sub_f16_e32 v35, v7, v9
	v_sub_f16_sdwa v39, v7, v9 dst_sel:DWORD dst_unused:UNUSED_PAD src0_sel:WORD_1 src1_sel:WORD_1
	v_sub_f16_sdwa v77, v32, v11 dst_sel:DWORD dst_unused:UNUSED_PAD src0_sel:WORD_1 src1_sel:WORD_1
	v_pack_b32_f16 v2, v2, v6
	v_add_f16_sdwa v6, v30, v22 dst_sel:DWORD dst_unused:UNUSED_PAD src0_sel:WORD_1 src1_sel:WORD_1
	v_add_f16_e32 v31, v39, v77
	ds_write2_b64 v90, v[2:3], v[0:1] offset0:2 offset1:3
	v_sub_f16_e32 v0, v36, v81
	v_sub_f16_e32 v1, v75, v4
	;; [unrolled: 1-line block ×4, first 2 shown]
	v_sub_f16_sdwa v4, v30, v22 dst_sel:DWORD dst_unused:UNUSED_PAD src0_sel:WORD_1 src1_sel:WORD_1
	v_sub_f16_e32 v8, v30, v22
	v_sub_f16_sdwa v23, v28, v24 dst_sel:DWORD dst_unused:UNUSED_PAD src0_sel:WORD_1 src1_sel:WORD_1
	v_pack_b32_f16 v1, v1, v2
	v_pack_b32_f16 v0, v0, v3
	v_sub_f16_e32 v2, v28, v30
	v_sub_f16_e32 v3, v30, v28
	;; [unrolled: 1-line block ×3, first 2 shown]
	v_add_f16_sdwa v37, v9, v11 dst_sel:DWORD dst_unused:UNUSED_PAD src0_sel:WORD_1 src1_sel:WORD_1
	ds_write_b64 v90, v[0:1] offset:32
	v_pk_add_f16 v0, v26, v28
	v_add_f16_e32 v1, v30, v22
	v_add_f16_sdwa v28, v28, v24 dst_sel:DWORD dst_unused:UNUSED_PAD src0_sel:WORD_1 src1_sel:WORD_1
	v_sub_f16_e32 v75, v32, v11
	v_sub_f16_e32 v76, v11, v32
	v_pk_add_f16 v0, v0, v30
	v_sub_f16_e32 v30, v22, v24
	v_fmamk_f16 v78, v4, 0x3b9c, v25
	v_fmac_f16_e32 v25, 0xbb9c, v4
	v_pk_add_f16 v0, v0, v22
	v_sub_f16_sdwa v22, v22, v24 dst_sel:DWORD dst_unused:UNUSED_PAD src0_sel:WORD_1 src1_sel:WORD_1
	v_fmac_f16_e32 v78, 0xb8b4, v23
	v_fmac_f16_e32 v25, 0x38b4, v23
	v_pk_add_f16 v24, v0, v24
	v_pk_add_f16 v0, v5, v7
	;; [unrolled: 1-line block ×3, first 2 shown]
	v_sub_f16_sdwa v9, v9, v7 dst_sel:DWORD dst_unused:UNUSED_PAD src0_sel:WORD_1 src1_sel:WORD_1
	v_add_f16_sdwa v7, v7, v32 dst_sel:DWORD dst_unused:UNUSED_PAD src0_sel:WORD_1 src1_sel:WORD_1
	v_pk_add_f16 v0, v0, v11
	v_sub_f16_sdwa v11, v11, v32 dst_sel:DWORD dst_unused:UNUSED_PAD src0_sel:WORD_1 src1_sel:WORD_1
	v_pk_add_f16 v32, v0, v32
	v_add_f16_e32 v0, v3, v30
	v_fma_f16 v30, -0.5, v1, v26
	v_lshrrev_b32_e32 v26, 16, v26
	v_fma_f16 v1, -0.5, v41, v5
	v_lshrrev_b32_e32 v3, 16, v5
	v_fmac_f16_e32 v78, 0x34f2, v0
	v_fmac_f16_e32 v25, 0x34f2, v0
	v_fma_f16 v6, -0.5, v6, v26
	v_fmac_f16_e32 v26, -0.5, v28
	v_add_f16_e32 v0, v12, v22
	v_fma_f16 v12, -0.5, v33, v5
	v_fma_f16 v22, -0.5, v37, v3
	v_fmac_f16_e32 v3, -0.5, v7
	v_fmamk_f16 v5, v8, 0xbb9c, v26
	v_fmac_f16_e32 v26, 0x3b9c, v8
	v_fmamk_f16 v7, v34, 0x3b9c, v1
	v_fmac_f16_e32 v1, 0xbb9c, v34
	;; [unrolled: 2-line block ×3, first 2 shown]
	v_fmac_f16_e32 v26, 0xb8b4, v27
	v_fmac_f16_e32 v7, 0xb8b4, v40
	;; [unrolled: 1-line block ×3, first 2 shown]
	v_fmamk_f16 v39, v27, 0x3b9c, v6
	v_fmac_f16_e32 v5, 0x34f2, v0
	v_fmac_f16_e32 v26, 0x34f2, v0
	v_add_f16_e32 v0, v36, v76
	v_fmac_f16_e32 v37, 0xb8b4, v4
	v_fmac_f16_e32 v39, 0x38b4, v8
	;; [unrolled: 1-line block ×6, first 2 shown]
	v_add_f16_e32 v0, v9, v11
	v_fmamk_f16 v9, v38, 0xbb9c, v3
	v_fmac_f16_e32 v3, 0x3b9c, v38
	v_fmac_f16_e32 v39, 0x34f2, v10
	;; [unrolled: 1-line block ×9, first 2 shown]
	v_mul_f16_e32 v33, 0xbb9c, v9
	v_mul_f16_e32 v11, 0xbb9c, v3
	;; [unrolled: 1-line block ×4, first 2 shown]
	v_fmac_f16_e32 v33, 0x34f2, v7
	v_fmac_f16_e32 v11, 0xb4f2, v1
	;; [unrolled: 1-line block ×4, first 2 shown]
	v_add_f16_e32 v7, v2, v29
	v_fmamk_f16 v2, v73, 0x3b9c, v22
	v_add_f16_e32 v0, v25, v11
	v_add_f16_e32 v1, v26, v28
	;; [unrolled: 1-line block ×4, first 2 shown]
	v_fmac_f16_e32 v2, 0x38b4, v38
	v_fmac_f16_e32 v37, 0x34f2, v7
	v_pack_b32_f16 v1, v0, v1
	v_add_f16_e32 v0, v78, v33
	v_fmac_f16_e32 v22, 0xbb9c, v73
	v_fmac_f16_e32 v2, 0x34f2, v31
	;; [unrolled: 1-line block ×3, first 2 shown]
	v_pack_b32_f16 v0, v0, v3
	v_fmamk_f16 v3, v40, 0xbb9c, v12
	v_mul_f16_e32 v35, 0xb8b4, v2
	v_fmac_f16_e32 v12, 0x3b9c, v40
	v_fmac_f16_e32 v22, 0xb8b4, v38
	;; [unrolled: 1-line block ×7, first 2 shown]
	v_mul_f16_e32 v4, 0xb8b4, v22
	v_mul_f16_e32 v36, 0x38b4, v3
	v_fmac_f16_e32 v35, 0x3a79, v3
	v_fmac_f16_e32 v4, 0xba79, v12
	;; [unrolled: 1-line block ×3, first 2 shown]
	v_add_f16_e32 v2, v37, v35
	v_add_f16_e32 v3, v39, v36
	v_pack_b32_f16 v3, v2, v3
	v_pk_add_f16 v2, v24, v32
	ds_write2_b64 v96, v[2:3], v[0:1] offset1:1
	v_sub_f16_e32 v2, v5, v9
	v_mul_f16_e32 v5, 0xba79, v22
	v_sub_f16_e32 v1, v78, v33
	v_sub_f16_e32 v0, v37, v35
	;; [unrolled: 1-line block ×3, first 2 shown]
	v_fmac_f16_e32 v5, 0x38b4, v12
	v_pack_b32_f16 v1, v1, v2
	v_add_f16_e32 v2, v30, v4
	v_pack_b32_f16 v0, v0, v3
	v_pk_add_f16 v3, v24, v32 neg_lo:[0,1] neg_hi:[0,1]
	v_add_f16_e32 v7, v6, v5
	v_pack_b32_f16 v2, v2, v7
	ds_write2_b64 v96, v[2:3], v[0:1] offset0:2 offset1:3
	v_sub_f16_e32 v0, v25, v11
	v_sub_f16_e32 v1, v30, v4
	;; [unrolled: 1-line block ×4, first 2 shown]
	v_pack_b32_f16 v1, v1, v2
	v_pack_b32_f16 v0, v0, v3
	ds_write_b64 v96, v[0:1] offset:32
	s_waitcnt lgkmcnt(0)
	s_barrier
	buffer_gl0_inv
	ds_read2st64_b32 v[22:23], v50 offset0:8 offset1:10
	ds_read2st64_b32 v[39:40], v50 offset0:48 offset1:50
	s_waitcnt lgkmcnt(1)
	v_lshrrev_b32_e32 v0, 16, v23
	v_mul_f16_sdwa v1, v46, v23 dst_sel:DWORD dst_unused:UNUSED_PAD src0_sel:WORD_1 src1_sel:DWORD
	v_mul_f16_sdwa v30, v46, v0 dst_sel:DWORD dst_unused:UNUSED_PAD src0_sel:WORD_1 src1_sel:DWORD
	v_fma_f16 v31, v46, v0, -v1
	ds_read2st64_b32 v[0:1], v50 offset0:20 offset1:22
	v_fmac_f16_e32 v30, v46, v23
	s_waitcnt lgkmcnt(0)
	v_lshrrev_b32_e32 v2, 16, v0
	v_mul_f16_sdwa v3, v47, v0 dst_sel:DWORD dst_unused:UNUSED_PAD src0_sel:WORD_1 src1_sel:DWORD
	v_mul_f16_sdwa v73, v47, v2 dst_sel:DWORD dst_unused:UNUSED_PAD src0_sel:WORD_1 src1_sel:DWORD
	v_fma_f16 v41, v47, v2, -v3
	ds_read2st64_b32 v[2:3], v50 offset0:28 offset1:30
	v_fmac_f16_e32 v73, v47, v0
	v_lshrrev_b32_e32 v0, 16, v1
	v_mul_f16_sdwa v27, v43, v0 dst_sel:DWORD dst_unused:UNUSED_PAD src0_sel:WORD_1 src1_sel:DWORD
	v_fmac_f16_e32 v27, v43, v1
	v_mul_f16_sdwa v1, v43, v1 dst_sel:DWORD dst_unused:UNUSED_PAD src0_sel:WORD_1 src1_sel:DWORD
	s_waitcnt lgkmcnt(0)
	v_lshrrev_b32_e32 v4, 16, v3
	v_mul_f16_sdwa v5, v48, v3 dst_sel:DWORD dst_unused:UNUSED_PAD src0_sel:WORD_1 src1_sel:DWORD
	v_fma_f16 v35, v43, v0, -v1
	ds_read2st64_b32 v[0:1], v50 offset0:12 offset1:14
	v_mul_f16_sdwa v76, v48, v4 dst_sel:DWORD dst_unused:UNUSED_PAD src0_sel:WORD_1 src1_sel:DWORD
	v_fma_f16 v75, v48, v4, -v5
	ds_read2st64_b32 v[4:5], v50 offset0:40 offset1:42
	v_fmac_f16_e32 v76, v48, v3
	v_add_f16_e32 v43, v31, v75
	s_waitcnt lgkmcnt(0)
	v_lshrrev_b32_e32 v6, 16, v4
	v_mul_f16_sdwa v7, v49, v4 dst_sel:DWORD dst_unused:UNUSED_PAD src0_sel:WORD_1 src1_sel:DWORD
	v_lshrrev_b32_e32 v3, 16, v5
	v_mul_f16_sdwa v78, v49, v6 dst_sel:DWORD dst_unused:UNUSED_PAD src0_sel:WORD_1 src1_sel:DWORD
	v_fma_f16 v77, v49, v6, -v7
	v_mul_f16_sdwa v32, v45, v3 dst_sel:DWORD dst_unused:UNUSED_PAD src0_sel:WORD_1 src1_sel:DWORD
	v_fmac_f16_e32 v78, v49, v4
	v_mul_f16_sdwa v4, v45, v5 dst_sel:DWORD dst_unused:UNUSED_PAD src0_sel:WORD_1 src1_sel:DWORD
	v_fmac_f16_e32 v32, v45, v5
	v_sub_f16_e32 v49, v41, v77
	v_fma_f16 v36, v45, v3, -v4
	v_lshrrev_b32_e32 v3, 16, v0
	v_mul_f16_sdwa v4, v42, v0 dst_sel:DWORD dst_unused:UNUSED_PAD src0_sel:WORD_1 src1_sel:DWORD
	v_mul_f16_sdwa v28, v42, v3 dst_sel:DWORD dst_unused:UNUSED_PAD src0_sel:WORD_1 src1_sel:DWORD
	v_fma_f16 v29, v42, v3, -v4
	ds_read2st64_b32 v[3:4], v50 offset0:32 offset1:34
	v_fmac_f16_e32 v28, v42, v0
	v_lshrrev_b32_e32 v0, 16, v1
	v_mul_f16_sdwa v23, v17, v0 dst_sel:DWORD dst_unused:UNUSED_PAD src0_sel:WORD_1 src1_sel:DWORD
	v_fmac_f16_e32 v23, v17, v1
	v_mul_f16_sdwa v1, v17, v1 dst_sel:DWORD dst_unused:UNUSED_PAD src0_sel:WORD_1 src1_sel:DWORD
	s_waitcnt lgkmcnt(0)
	v_lshrrev_b32_e32 v5, 16, v3
	v_fma_f16 v24, v17, v0, -v1
	ds_read2st64_b32 v[0:1], v50 offset0:24 offset1:26
	v_mul_f16_sdwa v6, v44, v3 dst_sel:DWORD dst_unused:UNUSED_PAD src0_sel:WORD_1 src1_sel:DWORD
	v_mul_f16_sdwa v48, v44, v5 dst_sel:DWORD dst_unused:UNUSED_PAD src0_sel:WORD_1 src1_sel:DWORD
	v_fma_f16 v47, v44, v5, -v6
	v_fmac_f16_e32 v48, v44, v3
	v_lshrrev_b32_e32 v3, 16, v4
	v_mul_f16_sdwa v25, v19, v3 dst_sel:DWORD dst_unused:UNUSED_PAD src0_sel:WORD_1 src1_sel:DWORD
	v_fmac_f16_e32 v25, v19, v4
	v_mul_f16_sdwa v4, v19, v4 dst_sel:DWORD dst_unused:UNUSED_PAD src0_sel:WORD_1 src1_sel:DWORD
	v_fma_f16 v26, v19, v3, -v4
	s_waitcnt lgkmcnt(0)
	v_lshrrev_b32_e32 v3, 16, v0
	v_mul_f16_sdwa v4, v18, v0 dst_sel:DWORD dst_unused:UNUSED_PAD src0_sel:WORD_1 src1_sel:DWORD
	v_mul_f16_sdwa v33, v18, v3 dst_sel:DWORD dst_unused:UNUSED_PAD src0_sel:WORD_1 src1_sel:DWORD
	v_fma_f16 v34, v18, v3, -v4
	ds_read2st64_b32 v[3:4], v50 offset0:44 offset1:46
	v_fmac_f16_e32 v33, v18, v0
	v_lshrrev_b32_e32 v0, 16, v1
	v_mul_f16_sdwa v8, v14, v0 dst_sel:DWORD dst_unused:UNUSED_PAD src0_sel:WORD_1 src1_sel:DWORD
	v_fmac_f16_e32 v8, v14, v1
	v_mul_f16_sdwa v1, v14, v1 dst_sel:DWORD dst_unused:UNUSED_PAD src0_sel:WORD_1 src1_sel:DWORD
	s_waitcnt lgkmcnt(0)
	v_lshrrev_b32_e32 v5, 16, v3
	v_fma_f16 v14, v14, v0, -v1
	ds_read2st64_b32 v[0:1], v50 offset0:16 offset1:18
	v_mul_f16_sdwa v6, v20, v3 dst_sel:DWORD dst_unused:UNUSED_PAD src0_sel:WORD_1 src1_sel:DWORD
	v_mul_f16_sdwa v37, v20, v5 dst_sel:DWORD dst_unused:UNUSED_PAD src0_sel:WORD_1 src1_sel:DWORD
	v_fma_f16 v38, v20, v5, -v6
	v_fmac_f16_e32 v37, v20, v3
	v_lshrrev_b32_e32 v3, 16, v4
	v_add_f16_e32 v20, v41, v77
	v_mul_f16_sdwa v17, v16, v3 dst_sel:DWORD dst_unused:UNUSED_PAD src0_sel:WORD_1 src1_sel:DWORD
	v_fmac_f16_e32 v17, v16, v4
	v_mul_f16_sdwa v4, v16, v4 dst_sel:DWORD dst_unused:UNUSED_PAD src0_sel:WORD_1 src1_sel:DWORD
	v_fma_f16 v16, v16, v3, -v4
	s_waitcnt lgkmcnt(0)
	v_lshrrev_b32_e32 v3, 16, v0
	v_mul_f16_sdwa v4, v13, v0 dst_sel:DWORD dst_unused:UNUSED_PAD src0_sel:WORD_1 src1_sel:DWORD
	v_mul_f16_sdwa v11, v13, v3 dst_sel:DWORD dst_unused:UNUSED_PAD src0_sel:WORD_1 src1_sel:DWORD
	v_fma_f16 v12, v13, v3, -v4
	ds_read2st64_b32 v[3:4], v50 offset0:36 offset1:38
	v_fmac_f16_e32 v11, v13, v0
	v_lshrrev_b32_e32 v0, 16, v1
	v_mul_f16_sdwa v13, v107, v40 dst_sel:DWORD dst_unused:UNUSED_PAD src0_sel:WORD_1 src1_sel:DWORD
	s_waitcnt lgkmcnt(0)
	v_lshrrev_b32_e32 v5, 16, v3
	v_mul_f16_sdwa v6, v15, v3 dst_sel:DWORD dst_unused:UNUSED_PAD src0_sel:WORD_1 src1_sel:DWORD
	v_lshrrev_b32_e32 v9, 16, v4
	v_mul_f16_sdwa v19, v15, v5 dst_sel:DWORD dst_unused:UNUSED_PAD src0_sel:WORD_1 src1_sel:DWORD
	v_fma_f16 v18, v15, v5, -v6
	v_mul_f16_sdwa v5, v226, v0 dst_sel:DWORD dst_unused:UNUSED_PAD src0_sel:WORD_1 src1_sel:DWORD
	v_mul_f16_sdwa v7, v228, v9 dst_sel:DWORD dst_unused:UNUSED_PAD src0_sel:WORD_1 src1_sel:DWORD
	v_fmac_f16_e32 v19, v15, v3
	v_lshrrev_b32_e32 v3, 16, v2
	v_fmac_f16_e32 v5, v226, v1
	v_mul_f16_sdwa v1, v226, v1 dst_sel:DWORD dst_unused:UNUSED_PAD src0_sel:WORD_1 src1_sel:DWORD
	v_fmac_f16_e32 v7, v228, v4
	v_mul_f16_sdwa v4, v228, v4 dst_sel:DWORD dst_unused:UNUSED_PAD src0_sel:WORD_1 src1_sel:DWORD
	v_mul_f16_sdwa v6, v227, v3 dst_sel:DWORD dst_unused:UNUSED_PAD src0_sel:WORD_1 src1_sel:DWORD
	v_fma_f16 v1, v226, v0, -v1
	v_lshrrev_b32_e32 v0, 16, v39
	v_fma_f16 v10, v228, v9, -v4
	v_fmac_f16_e32 v6, v227, v2
	v_mul_f16_sdwa v2, v227, v2 dst_sel:DWORD dst_unused:UNUSED_PAD src0_sel:WORD_1 src1_sel:DWORD
	v_fma_f16 v2, v227, v3, -v2
	v_mul_f16_sdwa v3, v229, v39 dst_sel:DWORD dst_unused:UNUSED_PAD src0_sel:WORD_1 src1_sel:DWORD
	v_fma_f16 v9, v229, v0, -v3
	v_mul_f16_sdwa v3, v229, v0 dst_sel:DWORD dst_unused:UNUSED_PAD src0_sel:WORD_1 src1_sel:DWORD
	v_lshrrev_b32_e32 v0, 16, v40
	v_fmac_f16_e32 v3, v229, v39
	v_mul_f16_sdwa v4, v107, v0 dst_sel:DWORD dst_unused:UNUSED_PAD src0_sel:WORD_1 src1_sel:DWORD
	v_fma_f16 v0, v107, v0, -v13
	v_fmac_f16_e32 v4, v107, v40
	ds_read2st64_b32 v[39:40], v50 offset1:2
	v_add_f16_e32 v42, v75, v0
	v_sub_f16_e32 v75, v75, v0
	v_add_f16_e32 v0, v43, v0
	v_add_f16_e32 v44, v76, v4
	v_fmac_f16_e32 v31, -0.5, v42
	v_add_f16_e32 v42, v30, v76
	v_sub_f16_e32 v76, v76, v4
	v_fmac_f16_e32 v30, -0.5, v44
	v_add_f16_e32 v4, v42, v4
	v_fmamk_f16 v42, v76, 0x3aee, v31
	v_fmac_f16_e32 v31, 0xbaee, v76
	s_waitcnt lgkmcnt(0)
	v_lshrrev_b32_e32 v13, 16, v39
	v_add_f16_e32 v15, v13, v41
	v_add_f16_e32 v41, v73, v78
	v_fmac_f16_e32 v13, -0.5, v20
	v_add_f16_e32 v20, v39, v73
	v_sub_f16_e32 v73, v73, v78
	v_add_f16_e32 v15, v15, v77
	v_fma_f16 v39, -0.5, v41, v39
	v_mul_f16_e32 v77, 0xbaee, v42
	v_add_f16_e32 v20, v20, v78
	v_mul_f16_e32 v78, 0.5, v42
	v_fmamk_f16 v42, v75, 0xbaee, v30
	v_fmamk_f16 v80, v49, 0xbaee, v39
	v_fmac_f16_e32 v39, 0x3aee, v49
	v_fmac_f16_e32 v30, 0x3aee, v75
	v_mul_f16_e32 v49, 0xbaee, v31
	v_mul_f16_e32 v31, -0.5, v31
	v_fmac_f16_e32 v77, 0.5, v42
	v_fmac_f16_e32 v78, 0x3aee, v42
	v_add_f16_e32 v42, v20, v4
	v_add_f16_e32 v43, v15, v0
	v_fmamk_f16 v81, v73, 0x3aee, v13
	v_fmac_f16_e32 v13, 0xbaee, v73
	v_fmac_f16_e32 v49, -0.5, v30
	v_fmac_f16_e32 v31, 0x3aee, v30
	v_pack_b32_f16 v79, v42, v43
	v_add_f16_e32 v41, v80, v77
	v_add_f16_e32 v42, v81, v78
	v_sub_f16_e32 v4, v20, v4
	v_sub_f16_e32 v0, v15, v0
	v_add_f16_e32 v15, v39, v49
	v_add_f16_e32 v20, v13, v31
	v_pack_b32_f16 v82, v41, v42
	ds_read2st64_b32 v[41:42], v50 offset0:52 offset1:54
	ds_read2st64_b32 v[43:44], v50 offset0:4 offset1:6
	;; [unrolled: 1-line block ×3, first 2 shown]
	v_pack_b32_f16 v0, v4, v0
	s_waitcnt lgkmcnt(0)
	v_pack_b32_f16 v15, v15, v20
	s_barrier
	buffer_gl0_inv
	v_sub_f16_e32 v4, v39, v49
	v_sub_f16_e32 v13, v13, v31
	ds_write2_b32 v94, v15, v0 offset0:20 offset1:30
	v_sub_f16_e32 v0, v80, v77
	v_sub_f16_e32 v15, v81, v78
	v_add_f16_e32 v20, v40, v27
	v_pack_b32_f16 v4, v4, v13
	v_add_f16_e32 v13, v27, v32
	v_add_f16_e32 v31, v28, v48
	v_pack_b32_f16 v0, v0, v15
	v_lshrrev_b32_e32 v15, 16, v40
	v_add_f16_e32 v39, v29, v47
	v_fmac_f16_e32 v40, -0.5, v13
	v_sub_f16_e32 v13, v35, v36
	ds_write2_b32 v94, v0, v4 offset0:40 offset1:50
	v_lshrrev_b32_e32 v0, 16, v41
	v_mul_f16_sdwa v4, v91, v41 dst_sel:DWORD dst_unused:UNUSED_PAD src0_sel:WORD_1 src1_sel:DWORD
	v_add_f16_e32 v20, v20, v32
	v_fmamk_f16 v30, v13, 0xbaee, v40
	v_fmac_f16_e32 v40, 0x3aee, v13
	v_sub_f16_e32 v27, v27, v32
	v_fma_f16 v4, v91, v0, -v4
	v_mul_f16_sdwa v0, v91, v0 dst_sel:DWORD dst_unused:UNUSED_PAD src0_sel:WORD_1 src1_sel:DWORD
	ds_write2_b32 v94, v79, v82 offset1:10
	v_fmac_f16_e32 v0, v91, v41
	v_add_f16_e32 v13, v48, v0
	v_fmac_f16_e32 v28, -0.5, v13
	v_add_f16_e32 v13, v47, v4
	v_fmac_f16_e32 v29, -0.5, v13
	v_sub_f16_e32 v13, v48, v0
	v_add_f16_e32 v0, v31, v0
	v_fmamk_f16 v41, v13, 0x3aee, v29
	v_fmac_f16_e32 v29, 0xbaee, v13
	v_sub_f16_e32 v13, v47, v4
	v_add_f16_e32 v4, v39, v4
	v_mul_f16_e32 v31, 0xbaee, v41
	v_mul_f16_e32 v32, 0.5, v41
	v_fmamk_f16 v47, v13, 0xbaee, v28
	v_fmac_f16_e32 v28, 0x3aee, v13
	v_mul_f16_e32 v13, 0xbaee, v29
	v_fmac_f16_e32 v31, 0.5, v47
	v_fmac_f16_e32 v32, 0x3aee, v47
	v_fmac_f16_e32 v13, -0.5, v28
	v_add_f16_e32 v48, v40, v13
	v_sub_f16_e32 v13, v40, v13
	v_add_f16_e32 v40, v15, v35
	v_add_f16_e32 v35, v35, v36
	v_add_f16_e32 v36, v40, v36
	v_fmac_f16_e32 v15, -0.5, v35
	v_add_f16_e32 v35, v20, v0
	v_sub_f16_e32 v0, v20, v0
	v_add_f16_e32 v40, v30, v31
	v_add_f16_e32 v39, v36, v4
	v_sub_f16_e32 v4, v36, v4
	v_pack_b32_f16 v35, v35, v39
	v_fmamk_f16 v39, v27, 0x3aee, v15
	v_fmac_f16_e32 v15, 0xbaee, v27
	v_mul_f16_e32 v27, -0.5, v29
	v_pack_b32_f16 v0, v0, v4
	v_sub_f16_e32 v29, v33, v37
	v_sub_f16_e32 v4, v39, v32
	v_add_f16_e32 v41, v39, v32
	v_fmac_f16_e32 v27, 0x3aee, v28
	v_add_f16_e32 v28, v33, v37
	v_pack_b32_f16 v40, v40, v41
	v_add_f16_e32 v20, v15, v27
	v_sub_f16_e32 v15, v15, v27
	v_sub_f16_e32 v27, v34, v38
	v_fma_f16 v28, -0.5, v28, v43
	ds_write2_b32 v95, v35, v40 offset1:10
	v_pack_b32_f16 v20, v48, v20
	ds_write2_b32 v95, v20, v0 offset0:20 offset1:30
	v_sub_f16_e32 v0, v30, v31
	v_add_f16_e32 v20, v34, v38
	v_add_f16_e32 v31, v24, v26
	v_pack_b32_f16 v0, v0, v4
	v_pack_b32_f16 v4, v13, v15
	v_mul_f16_sdwa v13, v93, v42 dst_sel:DWORD dst_unused:UNUSED_PAD src0_sel:WORD_1 src1_sel:DWORD
	ds_write2_b32 v95, v0, v4 offset0:40 offset1:50
	v_lshrrev_b32_e32 v0, 16, v42
	v_mul_f16_sdwa v4, v93, v0 dst_sel:DWORD dst_unused:UNUSED_PAD src0_sel:WORD_1 src1_sel:DWORD
	v_fma_f16 v0, v93, v0, -v13
	v_lshrrev_b32_e32 v13, 16, v43
	v_fmac_f16_e32 v4, v93, v42
	v_add_f16_e32 v30, v26, v0
	v_add_f16_e32 v15, v13, v34
	v_fmac_f16_e32 v13, -0.5, v20
	v_add_f16_e32 v20, v43, v33
	v_add_f16_e32 v32, v25, v4
	v_fmac_f16_e32 v24, -0.5, v30
	v_add_f16_e32 v30, v23, v25
	v_sub_f16_e32 v25, v25, v4
	v_sub_f16_e32 v26, v26, v0
	v_fmac_f16_e32 v23, -0.5, v32
	v_add_f16_e32 v15, v15, v38
	v_add_f16_e32 v4, v30, v4
	v_fmamk_f16 v30, v25, 0x3aee, v24
	v_add_f16_e32 v20, v20, v37
	v_add_f16_e32 v0, v31, v0
	v_fmamk_f16 v32, v26, 0xbaee, v23
	v_fmac_f16_e32 v24, 0xbaee, v25
	v_mul_f16_e32 v31, 0xbaee, v30
	v_mul_f16_e32 v30, 0.5, v30
	v_add_f16_e32 v33, v15, v0
	v_fmac_f16_e32 v23, 0x3aee, v26
	v_mul_f16_e32 v25, 0xbaee, v24
	v_fmac_f16_e32 v31, 0.5, v32
	v_fmac_f16_e32 v30, 0x3aee, v32
	v_add_f16_e32 v32, v20, v4
	v_mul_f16_e32 v24, -0.5, v24
	v_fmamk_f16 v34, v29, 0x3aee, v13
	v_fmac_f16_e32 v13, 0xbaee, v29
	v_fmac_f16_e32 v25, -0.5, v23
	v_pack_b32_f16 v32, v32, v33
	v_fmamk_f16 v33, v27, 0xbaee, v28
	v_fmac_f16_e32 v28, 0x3aee, v27
	v_fmac_f16_e32 v24, 0x3aee, v23
	v_sub_f16_e32 v4, v20, v4
	v_sub_f16_e32 v0, v15, v0
	v_add_f16_e32 v35, v33, v31
	v_add_f16_e32 v15, v28, v25
	;; [unrolled: 1-line block ×3, first 2 shown]
	v_sub_f16_e32 v13, v13, v24
	v_pack_b32_f16 v0, v4, v0
	v_sub_f16_e32 v4, v28, v25
	v_add_f16_e32 v24, v11, v19
	v_pack_b32_f16 v15, v15, v20
	v_add_f16_e32 v20, v44, v8
	v_add_f16_e32 v25, v12, v18
	v_pack_b32_f16 v4, v4, v13
	v_add_f16_e32 v13, v8, v17
	ds_write2_b32 v98, v15, v0 offset0:20 offset1:30
	v_sub_f16_e32 v0, v33, v31
	v_sub_f16_e32 v15, v34, v30
	v_sub_f16_e32 v8, v8, v17
	v_add_f16_e32 v36, v34, v30
	v_pack_b32_f16 v0, v0, v15
	v_lshrrev_b32_e32 v15, 16, v44
	v_fmac_f16_e32 v44, -0.5, v13
	v_sub_f16_e32 v13, v14, v16
	v_pack_b32_f16 v35, v35, v36
	ds_write2_b32 v98, v0, v4 offset0:40 offset1:50
	v_lshrrev_b32_e32 v0, 16, v45
	v_mul_f16_sdwa v4, v92, v45 dst_sel:DWORD dst_unused:UNUSED_PAD src0_sel:WORD_1 src1_sel:DWORD
	v_fmamk_f16 v23, v13, 0xbaee, v44
	v_fmac_f16_e32 v44, 0x3aee, v13
	v_add_f16_e32 v27, v15, v14
	v_add_f16_e32 v14, v14, v16
	v_fma_f16 v4, v92, v0, -v4
	v_mul_f16_sdwa v0, v92, v0 dst_sel:DWORD dst_unused:UNUSED_PAD src0_sel:WORD_1 src1_sel:DWORD
	ds_write2_b32 v98, v32, v35 offset1:10
	v_add_f16_e32 v16, v27, v16
	v_fmac_f16_e32 v15, -0.5, v14
	v_add_f16_e32 v14, v20, v17
	v_fmac_f16_e32 v0, v92, v45
	v_add_f16_e32 v13, v19, v0
	v_fmac_f16_e32 v11, -0.5, v13
	v_add_f16_e32 v13, v18, v4
	v_fmac_f16_e32 v12, -0.5, v13
	v_sub_f16_e32 v13, v19, v0
	v_add_f16_e32 v0, v24, v0
	v_fmamk_f16 v19, v13, 0x3aee, v12
	v_fmac_f16_e32 v12, 0xbaee, v13
	v_sub_f16_e32 v13, v18, v4
	v_add_f16_e32 v4, v25, v4
	v_mul_f16_e32 v17, 0xbaee, v19
	v_mul_f16_e32 v19, 0.5, v19
	v_fmamk_f16 v18, v13, 0xbaee, v11
	v_add_f16_e32 v20, v16, v4
	v_fmac_f16_e32 v11, 0x3aee, v13
	v_mul_f16_e32 v13, 0xbaee, v12
	v_sub_f16_e32 v4, v16, v4
	v_fmac_f16_e32 v17, 0.5, v18
	v_fmac_f16_e32 v19, 0x3aee, v18
	v_add_f16_e32 v18, v14, v0
	v_fmac_f16_e32 v13, -0.5, v11
	v_sub_f16_e32 v0, v14, v0
	v_add_f16_e32 v14, v5, v7
	v_add_f16_e32 v24, v23, v17
	v_pack_b32_f16 v18, v18, v20
	v_fmamk_f16 v20, v8, 0x3aee, v15
	v_fmac_f16_e32 v15, 0xbaee, v8
	v_mul_f16_e32 v8, -0.5, v12
	v_add_f16_e32 v26, v44, v13
	v_pack_b32_f16 v0, v0, v4
	v_sub_f16_e32 v13, v44, v13
	v_sub_f16_e32 v4, v20, v19
	v_fmac_f16_e32 v8, 0x3aee, v11
	v_add_f16_e32 v12, v22, v6
	v_add_f16_e32 v25, v20, v19
	;; [unrolled: 1-line block ×3, first 2 shown]
	v_sub_f16_e32 v8, v15, v8
	v_add_f16_e32 v15, v1, v10
	v_pack_b32_f16 v24, v24, v25
	v_pack_b32_f16 v11, v26, v11
	ds_write2_b32 v97, v18, v24 offset1:10
	ds_write2_b32 v97, v11, v0 offset0:20 offset1:30
	v_sub_f16_e32 v0, v23, v17
	v_lshrrev_b32_e32 v11, 16, v22
	v_pack_b32_f16 v0, v0, v4
	v_pack_b32_f16 v4, v13, v8
	v_mul_f16_sdwa v8, v74, v46 dst_sel:DWORD dst_unused:UNUSED_PAD src0_sel:WORD_1 src1_sel:DWORD
	v_add_f16_e32 v17, v11, v2
	ds_write2_b32 v97, v0, v4 offset0:40 offset1:50
	v_lshrrev_b32_e32 v0, 16, v46
	v_mul_f16_sdwa v4, v74, v0 dst_sel:DWORD dst_unused:UNUSED_PAD src0_sel:WORD_1 src1_sel:DWORD
	v_fma_f16 v0, v74, v0, -v8
	v_add_f16_e32 v8, v6, v3
	v_fmac_f16_e32 v4, v74, v46
	v_fmac_f16_e32 v22, -0.5, v8
	v_sub_f16_e32 v8, v2, v9
	v_add_f16_e32 v2, v2, v9
	v_add_f16_e32 v9, v17, v9
	v_fmamk_f16 v13, v8, 0xbaee, v22
	v_fmac_f16_e32 v22, 0x3aee, v8
	v_add_f16_e32 v8, v7, v4
	v_sub_f16_e32 v7, v7, v4
	v_fmac_f16_e32 v11, -0.5, v2
	v_add_f16_e32 v2, v12, v3
	v_sub_f16_e32 v3, v6, v3
	v_fmac_f16_e32 v5, -0.5, v8
	v_add_f16_e32 v8, v10, v0
	v_add_f16_e32 v4, v14, v4
	v_fmac_f16_e32 v1, -0.5, v8
	v_fmamk_f16 v8, v7, 0x3aee, v1
	v_fmac_f16_e32 v1, 0xbaee, v7
	v_sub_f16_e32 v7, v10, v0
	v_add_f16_e32 v0, v15, v0
	v_mul_f16_e32 v6, 0xbaee, v8
	v_mul_f16_e32 v8, 0.5, v8
	v_fmamk_f16 v10, v7, 0xbaee, v5
	v_fmac_f16_e32 v5, 0x3aee, v7
	v_mul_f16_e32 v7, 0xbaee, v1
	v_add_f16_e32 v12, v9, v0
	v_mul_f16_e32 v1, -0.5, v1
	v_fmac_f16_e32 v6, 0.5, v10
	v_fmac_f16_e32 v8, 0x3aee, v10
	v_add_f16_e32 v10, v2, v4
	v_fmac_f16_e32 v7, -0.5, v5
	v_fmac_f16_e32 v1, 0x3aee, v5
	v_sub_f16_e32 v2, v2, v4
	v_sub_f16_e32 v0, v9, v0
	v_pack_b32_f16 v10, v10, v12
	v_fmamk_f16 v12, v3, 0x3aee, v11
	v_fmac_f16_e32 v11, 0xbaee, v3
	v_add_f16_e32 v16, v22, v7
	v_pack_b32_f16 v0, v2, v0
	v_sub_f16_e32 v7, v22, v7
	v_add_f16_e32 v14, v13, v6
	v_add_f16_e32 v3, v11, v1
	;; [unrolled: 1-line block ×3, first 2 shown]
	v_sub_f16_e32 v2, v12, v8
	v_sub_f16_e32 v1, v11, v1
	v_pack_b32_f16 v3, v16, v3
	v_pack_b32_f16 v14, v14, v15
	v_pack_b32_f16 v1, v7, v1
	ds_write2_b32 v99, v3, v0 offset0:20 offset1:30
	v_sub_f16_e32 v0, v13, v6
	ds_write2_b32 v99, v10, v14 offset1:10
	v_pack_b32_f16 v0, v0, v2
	ds_write2_b32 v99, v0, v1 offset0:40 offset1:50
	s_waitcnt lgkmcnt(0)
	s_barrier
	buffer_gl0_inv
	ds_read2st64_b32 v[0:1], v50 offset0:28 offset1:30
	s_waitcnt lgkmcnt(0)
	v_lshrrev_b32_e32 v2, 16, v1
	v_mul_f16_sdwa v3, v116, v1 dst_sel:DWORD dst_unused:UNUSED_PAD src0_sel:WORD_1 src1_sel:DWORD
	v_mul_f16_sdwa v4, v116, v2 dst_sel:DWORD dst_unused:UNUSED_PAD src0_sel:WORD_1 src1_sel:DWORD
	v_fma_f16 v3, v116, v2, -v3
	v_fmac_f16_e32 v4, v116, v1
	ds_read2st64_b32 v[1:2], v50 offset1:2
	s_waitcnt lgkmcnt(0)
	v_lshrrev_b32_e32 v5, 16, v1
	v_sub_f16_e32 v4, v1, v4
	v_sub_f16_e32 v3, v5, v3
	v_fma_f16 v1, v1, 2.0, -v4
	v_fma_f16 v5, v5, 2.0, -v3
	v_pack_b32_f16 v30, v4, v3
	v_pack_b32_f16 v1, v1, v5
	ds_read2st64_b32 v[3:4], v50 offset0:32 offset1:34
	ds_read2st64_b32 v[5:6], v50 offset0:4 offset1:6
	;; [unrolled: 1-line block ×13, first 2 shown]
	s_waitcnt lgkmcnt(0)
	s_barrier
	buffer_gl0_inv
	buffer_load_dword v31, off, s[20:23], 0 offset:4 ; 4-byte Folded Reload
	s_waitcnt vmcnt(0)
	ds_write2_b32 v31, v1, v30 offset1:60
	v_lshrrev_b32_e32 v1, 16, v3
	v_mul_f16_sdwa v30, v114, v3 dst_sel:DWORD dst_unused:UNUSED_PAD src0_sel:WORD_1 src1_sel:DWORD
	v_fma_f16 v30, v114, v1, -v30
	v_mul_f16_sdwa v1, v114, v1 dst_sel:DWORD dst_unused:UNUSED_PAD src0_sel:WORD_1 src1_sel:DWORD
	v_fmac_f16_e32 v1, v114, v3
	v_lshrrev_b32_e32 v3, 16, v2
	v_sub_f16_e32 v1, v2, v1
	v_sub_f16_e32 v30, v3, v30
	v_fma_f16 v2, v2, 2.0, -v1
	v_fma_f16 v3, v3, 2.0, -v30
	v_pack_b32_f16 v1, v1, v30
	v_pack_b32_f16 v2, v2, v3
	buffer_load_dword v3, off, s[20:23], 0 offset:8 ; 4-byte Folded Reload
	s_waitcnt vmcnt(0)
	ds_write2_b32 v3, v2, v1 offset1:60
	v_lshrrev_b32_e32 v1, 16, v4
	v_mul_f16_sdwa v3, v115, v4 dst_sel:DWORD dst_unused:UNUSED_PAD src0_sel:WORD_1 src1_sel:DWORD
	v_mul_f16_sdwa v2, v115, v1 dst_sel:DWORD dst_unused:UNUSED_PAD src0_sel:WORD_1 src1_sel:DWORD
	v_fma_f16 v1, v115, v1, -v3
	v_lshrrev_b32_e32 v3, 16, v5
	v_fmac_f16_e32 v2, v115, v4
	v_sub_f16_e32 v1, v3, v1
	v_sub_f16_e32 v2, v5, v2
	v_fma_f16 v3, v3, 2.0, -v1
	v_fma_f16 v4, v5, 2.0, -v2
	v_pack_b32_f16 v1, v2, v1
	buffer_load_dword v2, off, s[20:23], 0 offset:12 ; 4-byte Folded Reload
	v_pack_b32_f16 v3, v4, v3
	s_waitcnt vmcnt(0)
	ds_write2_b32 v2, v3, v1 offset1:60
	v_lshrrev_b32_e32 v1, 16, v7
	v_mul_f16_sdwa v2, v113, v7 dst_sel:DWORD dst_unused:UNUSED_PAD src0_sel:WORD_1 src1_sel:DWORD
	v_lshrrev_b32_e32 v3, 16, v6
	v_fma_f16 v2, v113, v1, -v2
	v_mul_f16_sdwa v1, v113, v1 dst_sel:DWORD dst_unused:UNUSED_PAD src0_sel:WORD_1 src1_sel:DWORD
	v_sub_f16_e32 v2, v3, v2
	v_fmac_f16_e32 v1, v113, v7
	v_fma_f16 v3, v3, 2.0, -v2
	v_sub_f16_e32 v1, v6, v1
	v_fma_f16 v4, v6, 2.0, -v1
	v_pack_b32_f16 v1, v1, v2
	buffer_load_dword v2, off, s[20:23], 0 offset:16 ; 4-byte Folded Reload
	v_pack_b32_f16 v3, v4, v3
	s_waitcnt vmcnt(0)
	ds_write2_b32 v2, v3, v1 offset1:60
	v_lshrrev_b32_e32 v1, 16, v8
	v_mul_f16_sdwa v3, v112, v8 dst_sel:DWORD dst_unused:UNUSED_PAD src0_sel:WORD_1 src1_sel:DWORD
	v_mul_f16_sdwa v2, v112, v1 dst_sel:DWORD dst_unused:UNUSED_PAD src0_sel:WORD_1 src1_sel:DWORD
	v_fma_f16 v1, v112, v1, -v3
	v_lshrrev_b32_e32 v3, 16, v9
	v_fmac_f16_e32 v2, v112, v8
	v_sub_f16_e32 v1, v3, v1
	v_sub_f16_e32 v2, v9, v2
	v_fma_f16 v3, v3, 2.0, -v1
	v_fma_f16 v4, v9, 2.0, -v2
	v_pack_b32_f16 v1, v2, v1
	buffer_load_dword v2, off, s[20:23], 0 offset:20 ; 4-byte Folded Reload
	v_pack_b32_f16 v3, v4, v3
	s_waitcnt vmcnt(0)
	ds_write2_b32 v2, v3, v1 offset1:60
	v_lshrrev_b32_e32 v1, 16, v11
	v_mul_f16_sdwa v2, v110, v11 dst_sel:DWORD dst_unused:UNUSED_PAD src0_sel:WORD_1 src1_sel:DWORD
	v_lshrrev_b32_e32 v3, 16, v10
	v_fma_f16 v2, v110, v1, -v2
	v_mul_f16_sdwa v1, v110, v1 dst_sel:DWORD dst_unused:UNUSED_PAD src0_sel:WORD_1 src1_sel:DWORD
	v_sub_f16_e32 v2, v3, v2
	v_fmac_f16_e32 v1, v110, v11
	v_fma_f16 v3, v3, 2.0, -v2
	v_sub_f16_e32 v1, v10, v1
	v_fma_f16 v4, v10, 2.0, -v1
	v_pack_b32_f16 v1, v1, v2
	buffer_load_dword v2, off, s[20:23], 0 offset:24 ; 4-byte Folded Reload
	v_pack_b32_f16 v3, v4, v3
	;; [unrolled: 30-line block ×6, first 2 shown]
	s_waitcnt vmcnt(0)
	ds_write2_b32 v2, v3, v1 offset1:60
	v_lshrrev_b32_e32 v1, 16, v29
	v_mul_f16_sdwa v3, v100, v29 dst_sel:DWORD dst_unused:UNUSED_PAD src0_sel:WORD_1 src1_sel:DWORD
	v_mul_f16_sdwa v2, v100, v1 dst_sel:DWORD dst_unused:UNUSED_PAD src0_sel:WORD_1 src1_sel:DWORD
	v_fma_f16 v1, v100, v1, -v3
	v_lshrrev_b32_e32 v3, 16, v0
	v_fmac_f16_e32 v2, v100, v29
	v_sub_f16_e32 v1, v3, v1
	v_sub_f16_e32 v2, v0, v2
	v_fma_f16 v3, v3, 2.0, -v1
	v_fma_f16 v0, v0, 2.0, -v2
	v_pack_b32_f16 v1, v2, v1
	buffer_load_dword v2, off, s[20:23], 0 offset:60 ; 4-byte Folded Reload
	v_pack_b32_f16 v0, v0, v3
	s_waitcnt vmcnt(0)
	ds_write2_b32 v2, v0, v1 offset1:60
	s_waitcnt lgkmcnt(0)
	s_barrier
	buffer_gl0_inv
	ds_read2st64_b32 v[0:1], v50 offset0:28 offset1:30
	s_waitcnt lgkmcnt(0)
	v_lshrrev_b32_e32 v2, 16, v1
	v_mul_f16_sdwa v3, v146, v1 dst_sel:DWORD dst_unused:UNUSED_PAD src0_sel:WORD_1 src1_sel:DWORD
	v_mul_f16_sdwa v4, v146, v2 dst_sel:DWORD dst_unused:UNUSED_PAD src0_sel:WORD_1 src1_sel:DWORD
	v_fma_f16 v3, v146, v2, -v3
	v_fmac_f16_e32 v4, v146, v1
	ds_read2st64_b32 v[1:2], v50 offset1:2
	s_waitcnt lgkmcnt(0)
	v_lshrrev_b32_e32 v5, 16, v1
	v_sub_f16_e32 v4, v1, v4
	v_sub_f16_e32 v3, v5, v3
	v_fma_f16 v1, v1, 2.0, -v4
	v_fma_f16 v5, v5, 2.0, -v3
	v_pack_b32_f16 v30, v4, v3
	v_pack_b32_f16 v1, v1, v5
	ds_read2st64_b32 v[3:4], v50 offset0:32 offset1:34
	ds_read2st64_b32 v[5:6], v50 offset0:4 offset1:6
	;; [unrolled: 1-line block ×13, first 2 shown]
	s_waitcnt lgkmcnt(0)
	s_barrier
	buffer_gl0_inv
	ds_write2_b32 v134, v1, v30 offset1:120
	v_lshrrev_b32_e32 v1, 16, v3
	v_mul_f16_sdwa v30, v143, v3 dst_sel:DWORD dst_unused:UNUSED_PAD src0_sel:WORD_1 src1_sel:DWORD
	v_fma_f16 v30, v143, v1, -v30
	v_mul_f16_sdwa v1, v143, v1 dst_sel:DWORD dst_unused:UNUSED_PAD src0_sel:WORD_1 src1_sel:DWORD
	v_fmac_f16_e32 v1, v143, v3
	v_lshrrev_b32_e32 v3, 16, v2
	v_sub_f16_e32 v1, v2, v1
	v_sub_f16_e32 v30, v3, v30
	v_fma_f16 v2, v2, 2.0, -v1
	v_fma_f16 v3, v3, 2.0, -v30
	v_pack_b32_f16 v1, v1, v30
	v_pack_b32_f16 v2, v2, v3
	v_mul_f16_sdwa v3, v144, v4 dst_sel:DWORD dst_unused:UNUSED_PAD src0_sel:WORD_1 src1_sel:DWORD
	ds_write2_b32 v130, v2, v1 offset1:120
	v_lshrrev_b32_e32 v1, 16, v4
	v_mul_f16_sdwa v2, v144, v1 dst_sel:DWORD dst_unused:UNUSED_PAD src0_sel:WORD_1 src1_sel:DWORD
	v_fma_f16 v1, v144, v1, -v3
	v_lshrrev_b32_e32 v3, 16, v5
	v_fmac_f16_e32 v2, v144, v4
	v_sub_f16_e32 v1, v3, v1
	v_sub_f16_e32 v2, v5, v2
	v_fma_f16 v3, v3, 2.0, -v1
	v_fma_f16 v4, v5, 2.0, -v2
	v_pack_b32_f16 v1, v2, v1
	v_mul_f16_sdwa v2, v145, v7 dst_sel:DWORD dst_unused:UNUSED_PAD src0_sel:WORD_1 src1_sel:DWORD
	v_pack_b32_f16 v3, v4, v3
	ds_write2_b32 v149, v3, v1 offset1:120
	v_lshrrev_b32_e32 v1, 16, v7
	v_lshrrev_b32_e32 v3, 16, v6
	v_fma_f16 v2, v145, v1, -v2
	v_mul_f16_sdwa v1, v145, v1 dst_sel:DWORD dst_unused:UNUSED_PAD src0_sel:WORD_1 src1_sel:DWORD
	v_sub_f16_e32 v2, v3, v2
	v_fmac_f16_e32 v1, v145, v7
	v_fma_f16 v3, v3, 2.0, -v2
	v_sub_f16_e32 v1, v6, v1
	v_fma_f16 v4, v6, 2.0, -v1
	v_pack_b32_f16 v1, v1, v2
	v_pack_b32_f16 v3, v4, v3
	ds_write2_b32 v150, v3, v1 offset1:120
	v_lshrrev_b32_e32 v1, 16, v8
	v_mul_f16_sdwa v3, v142, v8 dst_sel:DWORD dst_unused:UNUSED_PAD src0_sel:WORD_1 src1_sel:DWORD
	v_mul_f16_sdwa v2, v142, v1 dst_sel:DWORD dst_unused:UNUSED_PAD src0_sel:WORD_1 src1_sel:DWORD
	v_fma_f16 v1, v142, v1, -v3
	v_lshrrev_b32_e32 v3, 16, v9
	v_fmac_f16_e32 v2, v142, v8
	v_sub_f16_e32 v1, v3, v1
	v_sub_f16_e32 v2, v9, v2
	v_fma_f16 v3, v3, 2.0, -v1
	v_fma_f16 v4, v9, 2.0, -v2
	v_pack_b32_f16 v1, v2, v1
	v_mul_f16_sdwa v2, v140, v11 dst_sel:DWORD dst_unused:UNUSED_PAD src0_sel:WORD_1 src1_sel:DWORD
	v_pack_b32_f16 v3, v4, v3
	ds_write2_b32 v127, v3, v1 offset1:120
	v_lshrrev_b32_e32 v1, 16, v11
	v_lshrrev_b32_e32 v3, 16, v10
	v_fma_f16 v2, v140, v1, -v2
	v_mul_f16_sdwa v1, v140, v1 dst_sel:DWORD dst_unused:UNUSED_PAD src0_sel:WORD_1 src1_sel:DWORD
	v_sub_f16_e32 v2, v3, v2
	v_fmac_f16_e32 v1, v140, v11
	v_fma_f16 v3, v3, 2.0, -v2
	v_sub_f16_e32 v1, v10, v1
	v_fma_f16 v4, v10, 2.0, -v1
	v_pack_b32_f16 v1, v1, v2
	v_pack_b32_f16 v3, v4, v3
	ds_write2_b32 v128, v3, v1 offset1:120
	v_lshrrev_b32_e32 v1, 16, v12
	v_mul_f16_sdwa v3, v138, v12 dst_sel:DWORD dst_unused:UNUSED_PAD src0_sel:WORD_1 src1_sel:DWORD
	;; [unrolled: 26-line block ×6, first 2 shown]
	v_mul_f16_sdwa v2, v131, v1 dst_sel:DWORD dst_unused:UNUSED_PAD src0_sel:WORD_1 src1_sel:DWORD
	v_fma_f16 v1, v131, v1, -v3
	v_lshrrev_b32_e32 v3, 16, v0
	v_fmac_f16_e32 v2, v131, v29
	v_sub_f16_e32 v1, v3, v1
	v_sub_f16_e32 v2, v0, v2
	v_fma_f16 v3, v3, 2.0, -v1
	v_fma_f16 v0, v0, 2.0, -v2
	v_pack_b32_f16 v1, v2, v1
	v_pack_b32_f16 v0, v0, v3
	ds_write2_b32 v178, v0, v1 offset1:120
	s_waitcnt lgkmcnt(0)
	s_barrier
	buffer_gl0_inv
	ds_read2st64_b32 v[0:1], v50 offset0:28 offset1:30
	s_waitcnt lgkmcnt(0)
	v_lshrrev_b32_e32 v2, 16, v1
	v_mul_f16_sdwa v3, v240, v1 dst_sel:DWORD dst_unused:UNUSED_PAD src0_sel:WORD_1 src1_sel:DWORD
	v_mul_f16_sdwa v4, v240, v2 dst_sel:DWORD dst_unused:UNUSED_PAD src0_sel:WORD_1 src1_sel:DWORD
	v_fma_f16 v3, v240, v2, -v3
	v_fmac_f16_e32 v4, v240, v1
	ds_read2st64_b32 v[1:2], v50 offset1:2
	s_waitcnt lgkmcnt(0)
	v_lshrrev_b32_e32 v5, 16, v1
	v_sub_f16_e32 v4, v1, v4
	v_sub_f16_e32 v3, v5, v3
	v_fma_f16 v1, v1, 2.0, -v4
	v_fma_f16 v5, v5, 2.0, -v3
	v_pack_b32_f16 v30, v4, v3
	v_pack_b32_f16 v1, v1, v5
	ds_read2st64_b32 v[3:4], v50 offset0:32 offset1:34
	ds_read2st64_b32 v[5:6], v50 offset0:4 offset1:6
	;; [unrolled: 1-line block ×13, first 2 shown]
	s_waitcnt lgkmcnt(0)
	s_barrier
	buffer_gl0_inv
	ds_write2_b32 v50, v1, v30 offset1:240
	v_lshrrev_b32_e32 v1, 16, v3
	v_mul_f16_sdwa v30, v191, v3 dst_sel:DWORD dst_unused:UNUSED_PAD src0_sel:WORD_1 src1_sel:DWORD
	v_fma_f16 v30, v191, v1, -v30
	v_mul_f16_sdwa v1, v191, v1 dst_sel:DWORD dst_unused:UNUSED_PAD src0_sel:WORD_1 src1_sel:DWORD
	v_fmac_f16_e32 v1, v191, v3
	v_lshrrev_b32_e32 v3, 16, v2
	v_sub_f16_e32 v1, v2, v1
	v_sub_f16_e32 v30, v3, v30
	v_fma_f16 v2, v2, 2.0, -v1
	v_fma_f16 v3, v3, 2.0, -v30
	v_pack_b32_f16 v1, v1, v30
	v_pack_b32_f16 v2, v2, v3
	v_mul_f16_sdwa v3, v202, v4 dst_sel:DWORD dst_unused:UNUSED_PAD src0_sel:WORD_1 src1_sel:DWORD
	ds_write2_b32 v124, v2, v1 offset1:240
	v_lshrrev_b32_e32 v1, 16, v4
	v_mul_f16_sdwa v2, v202, v1 dst_sel:DWORD dst_unused:UNUSED_PAD src0_sel:WORD_1 src1_sel:DWORD
	v_fma_f16 v1, v202, v1, -v3
	v_lshrrev_b32_e32 v3, 16, v5
	v_fmac_f16_e32 v2, v202, v4
	v_sub_f16_e32 v1, v3, v1
	v_sub_f16_e32 v2, v5, v2
	v_fma_f16 v3, v3, 2.0, -v1
	v_fma_f16 v4, v5, 2.0, -v2
	v_pack_b32_f16 v1, v2, v1
	v_mul_f16_sdwa v2, v196, v7 dst_sel:DWORD dst_unused:UNUSED_PAD src0_sel:WORD_1 src1_sel:DWORD
	v_pack_b32_f16 v3, v4, v3
	ds_write2_b32 v122, v3, v1 offset1:240
	v_lshrrev_b32_e32 v1, 16, v7
	v_lshrrev_b32_e32 v3, 16, v6
	v_fma_f16 v2, v196, v1, -v2
	v_mul_f16_sdwa v1, v196, v1 dst_sel:DWORD dst_unused:UNUSED_PAD src0_sel:WORD_1 src1_sel:DWORD
	v_sub_f16_e32 v2, v3, v2
	v_fmac_f16_e32 v1, v196, v7
	v_fma_f16 v3, v3, 2.0, -v2
	v_sub_f16_e32 v1, v6, v1
	v_fma_f16 v4, v6, 2.0, -v1
	v_pack_b32_f16 v1, v1, v2
	v_pack_b32_f16 v3, v4, v3
	ds_write2_b32 v123, v3, v1 offset1:240
	v_lshrrev_b32_e32 v1, 16, v8
	v_mul_f16_sdwa v3, v198, v8 dst_sel:DWORD dst_unused:UNUSED_PAD src0_sel:WORD_1 src1_sel:DWORD
	v_mul_f16_sdwa v2, v198, v1 dst_sel:DWORD dst_unused:UNUSED_PAD src0_sel:WORD_1 src1_sel:DWORD
	v_fma_f16 v1, v198, v1, -v3
	v_lshrrev_b32_e32 v3, 16, v9
	v_fmac_f16_e32 v2, v198, v8
	v_sub_f16_e32 v1, v3, v1
	v_sub_f16_e32 v2, v9, v2
	v_fma_f16 v3, v3, 2.0, -v1
	v_fma_f16 v4, v9, 2.0, -v2
	v_pack_b32_f16 v1, v2, v1
	v_mul_f16_sdwa v2, v199, v11 dst_sel:DWORD dst_unused:UNUSED_PAD src0_sel:WORD_1 src1_sel:DWORD
	v_pack_b32_f16 v3, v4, v3
	ds_write2_b32 v121, v3, v1 offset1:240
	v_lshrrev_b32_e32 v1, 16, v11
	v_lshrrev_b32_e32 v3, 16, v10
	v_fma_f16 v2, v199, v1, -v2
	v_mul_f16_sdwa v1, v199, v1 dst_sel:DWORD dst_unused:UNUSED_PAD src0_sel:WORD_1 src1_sel:DWORD
	v_sub_f16_e32 v2, v3, v2
	v_fmac_f16_e32 v1, v199, v11
	v_fma_f16 v3, v3, 2.0, -v2
	v_sub_f16_e32 v1, v10, v1
	v_fma_f16 v4, v10, 2.0, -v1
	v_pack_b32_f16 v1, v1, v2
	v_pack_b32_f16 v3, v4, v3
	ds_write2_b32 v120, v3, v1 offset1:240
	v_lshrrev_b32_e32 v1, 16, v12
	v_mul_f16_sdwa v3, v190, v12 dst_sel:DWORD dst_unused:UNUSED_PAD src0_sel:WORD_1 src1_sel:DWORD
	;; [unrolled: 26-line block ×6, first 2 shown]
	v_mul_f16_sdwa v2, v169, v1 dst_sel:DWORD dst_unused:UNUSED_PAD src0_sel:WORD_1 src1_sel:DWORD
	v_fma_f16 v1, v169, v1, -v3
	v_lshrrev_b32_e32 v3, 16, v0
	v_fmac_f16_e32 v2, v169, v29
	v_sub_f16_e32 v1, v3, v1
	v_sub_f16_e32 v2, v0, v2
	v_fma_f16 v3, v3, 2.0, -v1
	v_fma_f16 v0, v0, 2.0, -v2
	v_pack_b32_f16 v1, v2, v1
	v_pack_b32_f16 v0, v0, v3
	ds_write2_b32 v117, v0, v1 offset1:240
	s_waitcnt lgkmcnt(0)
	s_barrier
	buffer_gl0_inv
	ds_read2st64_b32 v[0:1], v50 offset0:32 offset1:34
	s_waitcnt lgkmcnt(0)
	v_lshrrev_b32_e32 v2, 16, v1
	v_mul_f16_sdwa v3, v247, v1 dst_sel:DWORD dst_unused:UNUSED_PAD src0_sel:WORD_1 src1_sel:DWORD
	v_mul_f16_sdwa v5, v247, v2 dst_sel:DWORD dst_unused:UNUSED_PAD src0_sel:WORD_1 src1_sel:DWORD
	v_fma_f16 v4, v247, v2, -v3
	v_fmac_f16_e32 v5, v247, v1
	ds_read2st64_b32 v[1:2], v50 offset0:28 offset1:30
	s_waitcnt lgkmcnt(0)
	v_lshrrev_b32_e32 v3, 16, v2
	v_mul_f16_sdwa v6, v245, v2 dst_sel:DWORD dst_unused:UNUSED_PAD src0_sel:WORD_1 src1_sel:DWORD
	v_mul_f16_sdwa v7, v245, v3 dst_sel:DWORD dst_unused:UNUSED_PAD src0_sel:WORD_1 src1_sel:DWORD
	v_fma_f16 v6, v245, v3, -v6
	v_fmac_f16_e32 v7, v245, v2
	ds_read2st64_b32 v[2:3], v50 offset0:4 offset1:6
	s_waitcnt lgkmcnt(0)
	v_lshrrev_b32_e32 v8, 16, v2
	v_sub_f16_e32 v30, v2, v5
	v_sub_f16_e32 v20, v8, v4
	v_fma_f16 v2, v2, 2.0, -v30
	v_fma_f16 v4, v8, 2.0, -v20
	v_pack_b32_f16 v2, v2, v4
	ds_read2st64_b32 v[4:5], v50 offset1:2
	s_waitcnt lgkmcnt(0)
	v_lshrrev_b32_e32 v32, 16, v4
	v_sub_f16_e32 v31, v4, v7
	v_sub_f16_e32 v33, v32, v6
	ds_read2st64_b32 v[6:7], v50 offset0:36 offset1:38
	ds_read2st64_b32 v[8:9], v50 offset0:8 offset1:10
	;; [unrolled: 1-line block ×11, first 2 shown]
	s_waitcnt lgkmcnt(0)
	s_barrier
	buffer_gl0_inv
	v_pack_b32_f16 v34, v31, v33
	v_fma_f16 v4, v4, 2.0, -v31
	v_lshrrev_b32_e32 v31, 16, v5
	ds_write2_b32 v102, v2, v34 offset1:224
	v_lshrrev_b32_e32 v2, 16, v0
	v_mul_f16_sdwa v35, v179, v6 dst_sel:DWORD dst_unused:UNUSED_PAD src0_sel:WORD_1 src1_sel:DWORD
	v_mul_f16_sdwa v34, v236, v2 dst_sel:DWORD dst_unused:UNUSED_PAD src0_sel:WORD_1 src1_sel:DWORD
	v_fmac_f16_e32 v34, v236, v0
	v_mul_f16_sdwa v0, v236, v0 dst_sel:DWORD dst_unused:UNUSED_PAD src0_sel:WORD_1 src1_sel:DWORD
	v_fma_f16 v0, v236, v2, -v0
	v_lshrrev_b32_e32 v2, 16, v6
	v_sub_f16_e32 v0, v31, v0
	v_fma_f16 v35, v179, v2, -v35
	v_mul_f16_sdwa v2, v179, v2 dst_sel:DWORD dst_unused:UNUSED_PAD src0_sel:WORD_1 src1_sel:DWORD
	v_fmac_f16_e32 v2, v179, v6
	v_lshrrev_b32_e32 v6, 16, v7
	v_mul_f16_sdwa v36, v234, v6 dst_sel:DWORD dst_unused:UNUSED_PAD src0_sel:WORD_1 src1_sel:DWORD
	v_fmac_f16_e32 v36, v234, v7
	v_mul_f16_sdwa v7, v234, v7 dst_sel:DWORD dst_unused:UNUSED_PAD src0_sel:WORD_1 src1_sel:DWORD
	v_fma_f16 v6, v234, v6, -v7
	v_fma_f16 v7, v32, 2.0, -v33
	v_sub_f16_e32 v32, v5, v34
	v_pack_b32_f16 v4, v4, v7
	v_fma_f16 v5, v5, 2.0, -v32
	v_fma_f16 v7, v31, 2.0, -v0
	v_pack_b32_f16 v0, v32, v0
	v_pack_b32_f16 v5, v5, v7
	ds_write2st64_b32 v50, v4, v5 offset1:2
	v_pack_b32_f16 v4, v30, v20
	v_lshrrev_b32_e32 v5, 16, v9
	v_mul_f16_sdwa v20, v189, v25 dst_sel:DWORD dst_unused:UNUSED_PAD src0_sel:WORD_1 src1_sel:DWORD
	ds_write2st64_b32 v204, v0, v4 offset0:9 offset1:11
	v_sub_f16_e32 v0, v3, v2
	v_lshrrev_b32_e32 v2, 16, v3
	v_fma_f16 v3, v3, 2.0, -v0
	v_sub_f16_e32 v4, v2, v35
	v_fma_f16 v2, v2, 2.0, -v4
	v_pack_b32_f16 v0, v0, v4
	v_lshrrev_b32_e32 v4, 16, v8
	v_pack_b32_f16 v2, v3, v2
	ds_write_b32 v211, v2
	ds_write_b32 v211, v0 offset:1920
	v_lshrrev_b32_e32 v0, 16, v10
	v_mul_f16_sdwa v2, v195, v10 dst_sel:DWORD dst_unused:UNUSED_PAD src0_sel:WORD_1 src1_sel:DWORD
	v_sub_f16_e32 v3, v8, v36
	v_sub_f16_e32 v6, v4, v6
	v_fma_f16 v2, v195, v0, -v2
	v_mul_f16_sdwa v0, v195, v0 dst_sel:DWORD dst_unused:UNUSED_PAD src0_sel:WORD_1 src1_sel:DWORD
	v_fma_f16 v7, v8, 2.0, -v3
	v_fma_f16 v4, v4, 2.0, -v6
	v_pack_b32_f16 v3, v3, v6
	v_sub_f16_e32 v2, v5, v2
	v_fmac_f16_e32 v0, v195, v10
	v_lshrrev_b32_e32 v6, 16, v12
	v_pack_b32_f16 v4, v7, v4
	v_mul_f16_sdwa v7, v188, v11 dst_sel:DWORD dst_unused:UNUSED_PAD src0_sel:WORD_1 src1_sel:DWORD
	v_fma_f16 v5, v5, 2.0, -v2
	v_sub_f16_e32 v0, v9, v0
	v_mul_f16_sdwa v10, v192, v18 dst_sel:DWORD dst_unused:UNUSED_PAD src0_sel:WORD_1 src1_sel:DWORD
	v_fma_f16 v8, v9, 2.0, -v0
	v_pack_b32_f16 v0, v0, v2
	v_mul_f16_sdwa v9, v194, v15 dst_sel:DWORD dst_unused:UNUSED_PAD src0_sel:WORD_1 src1_sel:DWORD
	v_pack_b32_f16 v5, v8, v5
	ds_write2st64_b32 v204, v4, v5 offset0:15 offset1:17
	v_lshrrev_b32_e32 v4, 16, v11
	v_mul_f16_sdwa v5, v188, v4 dst_sel:DWORD dst_unused:UNUSED_PAD src0_sel:WORD_1 src1_sel:DWORD
	v_fma_f16 v4, v188, v4, -v7
	v_fmac_f16_e32 v5, v188, v11
	v_sub_f16_e32 v4, v6, v4
	v_lshrrev_b32_e32 v11, 16, v19
	v_sub_f16_e32 v5, v12, v5
	v_fma_f16 v6, v6, 2.0, -v4
	v_fma_f16 v7, v12, 2.0, -v5
	v_pack_b32_f16 v2, v5, v4
	v_mul_f16_sdwa v12, v193, v11 dst_sel:DWORD dst_unused:UNUSED_PAD src0_sel:WORD_1 src1_sel:DWORD
	v_pack_b32_f16 v6, v7, v6
	ds_write2st64_b32 v50, v0, v2 offset0:25 offset1:27
	v_lshrrev_b32_e32 v2, 16, v13
	v_lshrrev_b32_e32 v7, 16, v15
	v_fmac_f16_e32 v12, v193, v19
	ds_write2_b32 v220, v6, v3 offset1:224
	v_lshrrev_b32_e32 v3, 16, v14
	v_mul_f16_sdwa v6, v184, v14 dst_sel:DWORD dst_unused:UNUSED_PAD src0_sel:WORD_1 src1_sel:DWORD
	v_mul_f16_sdwa v8, v194, v7 dst_sel:DWORD dst_unused:UNUSED_PAD src0_sel:WORD_1 src1_sel:DWORD
	v_fma_f16 v7, v194, v7, -v9
	v_lshrrev_b32_e32 v9, 16, v18
	v_fma_f16 v6, v184, v3, -v6
	v_mul_f16_sdwa v3, v184, v3 dst_sel:DWORD dst_unused:UNUSED_PAD src0_sel:WORD_1 src1_sel:DWORD
	v_fmac_f16_e32 v8, v194, v15
	v_fma_f16 v10, v192, v9, -v10
	v_mul_f16_sdwa v9, v192, v9 dst_sel:DWORD dst_unused:UNUSED_PAD src0_sel:WORD_1 src1_sel:DWORD
	v_sub_f16_e32 v4, v2, v6
	v_fmac_f16_e32 v3, v184, v14
	v_mul_f16_sdwa v14, v193, v19 dst_sel:DWORD dst_unused:UNUSED_PAD src0_sel:WORD_1 src1_sel:DWORD
	v_mul_f16_sdwa v15, v187, v24 dst_sel:DWORD dst_unused:UNUSED_PAD src0_sel:WORD_1 src1_sel:DWORD
	v_fmac_f16_e32 v9, v192, v18
	v_fma_f16 v2, v2, 2.0, -v4
	v_sub_f16_e32 v0, v13, v3
	v_fma_f16 v11, v193, v11, -v14
	v_lshrrev_b32_e32 v14, 16, v24
	v_lshrrev_b32_e32 v18, 16, v25
	;; [unrolled: 1-line block ×3, first 2 shown]
	v_fma_f16 v3, v13, 2.0, -v0
	v_pack_b32_f16 v0, v0, v4
	v_fma_f16 v15, v187, v14, -v15
	v_mul_f16_sdwa v14, v187, v14 dst_sel:DWORD dst_unused:UNUSED_PAD src0_sel:WORD_1 src1_sel:DWORD
	v_mul_f16_sdwa v19, v189, v18 dst_sel:DWORD dst_unused:UNUSED_PAD src0_sel:WORD_1 src1_sel:DWORD
	v_pack_b32_f16 v2, v3, v2
	ds_write_b32 v224, v2
	ds_write_b32 v224, v0 offset:1920
	v_lshrrev_b32_e32 v0, 16, v16
	v_sub_f16_e32 v3, v16, v8
	v_fmac_f16_e32 v14, v187, v24
	v_fmac_f16_e32 v19, v189, v25
	v_fma_f16 v18, v189, v18, -v20
	v_sub_f16_e32 v2, v0, v7
	v_fma_f16 v4, v16, 2.0, -v3
	v_lshrrev_b32_e32 v20, 16, v28
	v_mul_f16_sdwa v24, v186, v28 dst_sel:DWORD dst_unused:UNUSED_PAD src0_sel:WORD_1 src1_sel:DWORD
	v_lshrrev_b32_e32 v25, 16, v29
	v_fma_f16 v0, v0, 2.0, -v2
	v_pack_b32_f16 v2, v3, v2
	v_fma_f16 v24, v186, v20, -v24
	v_mul_f16_sdwa v20, v186, v20 dst_sel:DWORD dst_unused:UNUSED_PAD src0_sel:WORD_1 src1_sel:DWORD
	v_pack_b32_f16 v0, v4, v0
	ds_write_b32 v180, v0 offset:7680
	ds_write_b32 v180, v2 offset:9600
	v_lshrrev_b32_e32 v2, 16, v17
	v_sub_f16_e32 v0, v17, v9
	v_fmac_f16_e32 v20, v186, v28
	v_mul_f16_sdwa v28, v185, v25 dst_sel:DWORD dst_unused:UNUSED_PAD src0_sel:WORD_1 src1_sel:DWORD
	v_sub_f16_e32 v4, v2, v10
	v_fma_f16 v3, v17, 2.0, -v0
	v_fmac_f16_e32 v28, v185, v29
	v_mul_f16_sdwa v29, v185, v29 dst_sel:DWORD dst_unused:UNUSED_PAD src0_sel:WORD_1 src1_sel:DWORD
	v_fma_f16 v2, v2, 2.0, -v4
	v_pack_b32_f16 v0, v0, v4
	v_fma_f16 v25, v185, v25, -v29
	v_pack_b32_f16 v2, v3, v2
	ds_write_b32 v177, v2 offset:7680
	ds_write_b32 v177, v0 offset:9600
	v_lshrrev_b32_e32 v0, 16, v22
	v_sub_f16_e32 v3, v22, v12
	v_sub_f16_e32 v7, v6, v25
	;; [unrolled: 1-line block ×3, first 2 shown]
	v_fma_f16 v4, v22, 2.0, -v3
	v_fma_f16 v6, v6, 2.0, -v7
	;; [unrolled: 1-line block ×3, first 2 shown]
	v_pack_b32_f16 v2, v3, v2
	v_pack_b32_f16 v0, v4, v0
	ds_write_b32 v175, v0 offset:7680
	ds_write_b32 v175, v2 offset:9600
	v_lshrrev_b32_e32 v2, 16, v23
	v_sub_f16_e32 v0, v23, v14
	v_sub_f16_e32 v4, v2, v15
	v_fma_f16 v3, v23, 2.0, -v0
	v_fma_f16 v2, v2, 2.0, -v4
	v_pack_b32_f16 v0, v0, v4
	v_pack_b32_f16 v2, v3, v2
	ds_write_b32 v219, v2
	ds_write_b32 v219, v0 offset:1920
	v_lshrrev_b32_e32 v0, 16, v26
	v_sub_f16_e32 v3, v26, v19
	v_sub_f16_e32 v2, v0, v18
	v_fma_f16 v4, v26, 2.0, -v3
	v_fma_f16 v0, v0, 2.0, -v2
	v_pack_b32_f16 v2, v3, v2
	v_lshrrev_b32_e32 v3, 16, v27
	v_pack_b32_f16 v0, v4, v0
	v_sub_f16_e32 v5, v3, v24
	ds_write_b32 v168, v0 offset:11520
	v_sub_f16_e32 v0, v27, v20
	v_fma_f16 v3, v3, 2.0, -v5
	v_fma_f16 v4, v27, 2.0, -v0
	v_pack_b32_f16 v0, v0, v5
	v_pack_b32_f16 v3, v4, v3
	v_sub_f16_e32 v4, v1, v28
	v_fma_f16 v1, v1, 2.0, -v4
	v_pack_b32_f16 v4, v4, v7
	v_pack_b32_f16 v1, v1, v6
	ds_write_b32 v168, v2 offset:13440
	ds_write_b32 v167, v3 offset:11520
	;; [unrolled: 1-line block ×5, first 2 shown]
	s_waitcnt lgkmcnt(0)
	s_barrier
	buffer_gl0_inv
	ds_read2st64_b32 v[0:1], v50 offset0:32 offset1:34
	ds_read2st64_b32 v[2:3], v50 offset0:36 offset1:38
	;; [unrolled: 1-line block ×3, first 2 shown]
	s_waitcnt lgkmcnt(2)
	v_lshrrev_b32_e32 v6, 16, v0
	v_lshrrev_b32_e32 v7, 16, v1
	v_mul_f16_sdwa v8, v223, v0 dst_sel:DWORD dst_unused:UNUSED_PAD src0_sel:WORD_1 src1_sel:DWORD
	s_waitcnt lgkmcnt(1)
	v_lshrrev_b32_e32 v10, 16, v3
	v_mul_f16_sdwa v9, v223, v6 dst_sel:DWORD dst_unused:UNUSED_PAD src0_sel:WORD_1 src1_sel:DWORD
	v_mul_f16_sdwa v22, v225, v7 dst_sel:DWORD dst_unused:UNUSED_PAD src0_sel:WORD_1 src1_sel:DWORD
	v_fma_f16 v6, v223, v6, -v8
	v_mul_f16_sdwa v8, v221, v2 dst_sel:DWORD dst_unused:UNUSED_PAD src0_sel:WORD_1 src1_sel:DWORD
	v_mul_f16_sdwa v26, v222, v10 dst_sel:DWORD dst_unused:UNUSED_PAD src0_sel:WORD_1 src1_sel:DWORD
	v_fmac_f16_e32 v9, v223, v0
	v_mul_f16_sdwa v0, v225, v1 dst_sel:DWORD dst_unused:UNUSED_PAD src0_sel:WORD_1 src1_sel:DWORD
	v_fmac_f16_e32 v22, v225, v1
	v_lshrrev_b32_e32 v1, 16, v2
	v_fmac_f16_e32 v26, v222, v3
	v_fma_f16 v23, v225, v7, -v0
	v_mul_f16_sdwa v0, v222, v3 dst_sel:DWORD dst_unused:UNUSED_PAD src0_sel:WORD_1 src1_sel:DWORD
	v_fma_f16 v24, v221, v1, -v8
	v_mul_f16_sdwa v25, v221, v1 dst_sel:DWORD dst_unused:UNUSED_PAD src0_sel:WORD_1 src1_sel:DWORD
	s_waitcnt lgkmcnt(0)
	v_mul_f16_sdwa v3, v244, v4 dst_sel:DWORD dst_unused:UNUSED_PAD src0_sel:WORD_1 src1_sel:DWORD
	v_fma_f16 v27, v222, v10, -v0
	ds_read2st64_b32 v[0:1], v50 offset0:28 offset1:30
	v_fmac_f16_e32 v25, v221, v2
	v_lshrrev_b32_e32 v2, 16, v4
	v_mul_f16_sdwa v29, v244, v2 dst_sel:DWORD dst_unused:UNUSED_PAD src0_sel:WORD_1 src1_sel:DWORD
	v_fma_f16 v28, v244, v2, -v3
	v_lshrrev_b32_e32 v2, 16, v5
	v_mul_f16_sdwa v3, v243, v5 dst_sel:DWORD dst_unused:UNUSED_PAD src0_sel:WORD_1 src1_sel:DWORD
	v_fmac_f16_e32 v29, v244, v4
	v_mul_f16_sdwa v30, v243, v2 dst_sel:DWORD dst_unused:UNUSED_PAD src0_sel:WORD_1 src1_sel:DWORD
	v_fma_f16 v31, v243, v2, -v3
	v_fmac_f16_e32 v30, v243, v5
	s_waitcnt lgkmcnt(0)
	v_lshrrev_b32_e32 v4, 16, v1
	v_mul_f16_sdwa v2, v201, v1 dst_sel:DWORD dst_unused:UNUSED_PAD src0_sel:WORD_1 src1_sel:DWORD
	v_mul_f16_sdwa v3, v201, v4 dst_sel:DWORD dst_unused:UNUSED_PAD src0_sel:WORD_1 src1_sel:DWORD
	v_fma_f16 v4, v201, v4, -v2
	v_fmac_f16_e32 v3, v201, v1
	ds_read2st64_b32 v[1:2], v50 offset1:2
	s_waitcnt lgkmcnt(0)
	v_sub_f16_e32 v32, v1, v3
	v_lshrrev_b32_e32 v3, 16, v1
	v_lshrrev_b32_e32 v5, 16, v2
	v_sub_f16_e32 v33, v2, v9
	v_fma_f16 v1, v1, 2.0, -v32
	v_sub_f16_e32 v34, v3, v4
	v_sub_f16_e32 v36, v5, v6
	v_fma_f16 v2, v2, 2.0, -v33
	v_fma_f16 v3, v3, 2.0, -v34
	v_pack_b32_f16 v33, v33, v36
	v_pack_b32_f16 v35, v1, v3
	v_fma_f16 v1, v5, 2.0, -v36
	v_pack_b32_f16 v37, v2, v1
	ds_read2st64_b32 v[1:2], v50 offset0:4 offset1:6
	ds_read2st64_b32 v[3:4], v50 offset0:8 offset1:10
	ds_read2st64_b32 v[5:6], v50 offset0:12 offset1:14
	ds_read2st64_b32 v[7:8], v50 offset0:44 offset1:46
	ds_read2st64_b32 v[9:10], v50 offset0:16 offset1:18
	ds_read2st64_b32 v[11:12], v50 offset0:48 offset1:50
	ds_read2st64_b32 v[13:14], v50 offset0:20 offset1:22
	ds_read2st64_b32 v[15:16], v50 offset0:52 offset1:54
	ds_read2st64_b32 v[17:18], v50 offset0:24 offset1:26
	ds_read2st64_b32 v[19:20], v50 offset0:56 offset1:58
	s_waitcnt lgkmcnt(0)
	s_barrier
	buffer_gl0_inv
	ds_write2st64_b32 v50, v35, v37 offset1:2
	v_lshrrev_b32_e32 v35, 16, v1
	v_sub_f16_e32 v22, v1, v22
	v_sub_f16_e32 v25, v2, v25
	;; [unrolled: 1-line block ×3, first 2 shown]
	v_fma_f16 v1, v1, 2.0, -v22
	v_pack_b32_f16 v36, v22, v23
	v_fma_f16 v23, v35, 2.0, -v23
	v_lshrrev_b32_e32 v22, 16, v2
	v_fma_f16 v2, v2, 2.0, -v25
	ds_write2st64_b32 v50, v33, v36 offset0:17 offset1:19
	v_pack_b32_f16 v1, v1, v23
	v_sub_f16_e32 v23, v22, v24
	v_fma_f16 v22, v22, 2.0, -v23
	v_pack_b32_f16 v2, v2, v22
	v_lshrrev_b32_e32 v22, 16, v3
	ds_write2st64_b32 v50, v1, v2 offset0:4 offset1:6
	v_pack_b32_f16 v1, v25, v23
	v_sub_f16_e32 v2, v3, v26
	v_sub_f16_e32 v23, v22, v27
	v_pack_b32_f16 v24, v2, v23
	v_fma_f16 v2, v3, 2.0, -v2
	v_lshrrev_b32_e32 v3, 16, v4
	ds_write2st64_b32 v50, v1, v24 offset0:21 offset1:23
	v_fma_f16 v1, v22, 2.0, -v23
	v_sub_f16_e32 v22, v4, v29
	v_sub_f16_e32 v23, v5, v30
	v_pack_b32_f16 v1, v2, v1
	v_sub_f16_e32 v2, v3, v28
	v_fma_f16 v4, v4, 2.0, -v22
	v_fma_f16 v3, v3, 2.0, -v2
	v_pack_b32_f16 v3, v4, v3
	ds_write2st64_b32 v50, v1, v3 offset0:8 offset1:10
	v_lshrrev_b32_e32 v3, 16, v5
	v_fma_f16 v5, v5, 2.0, -v23
	v_pack_b32_f16 v1, v32, v34
	v_sub_f16_e32 v4, v3, v31
	v_fma_f16 v3, v3, 2.0, -v4
	v_pack_b32_f16 v3, v5, v3
	v_lshrrev_b32_e32 v5, 16, v12
	ds_write2st64_b32 v50, v3, v1 offset0:12 offset1:15
	v_pack_b32_f16 v1, v22, v2
	v_pack_b32_f16 v2, v23, v4
	v_lshrrev_b32_e32 v3, 16, v6
	v_mul_f16_sdwa v23, v174, v19 dst_sel:DWORD dst_unused:UNUSED_PAD src0_sel:WORD_1 src1_sel:DWORD
	ds_write2st64_b32 v50, v1, v2 offset0:25 offset1:27
	v_lshrrev_b32_e32 v1, 16, v7
	v_mul_f16_sdwa v2, v153, v7 dst_sel:DWORD dst_unused:UNUSED_PAD src0_sel:WORD_1 src1_sel:DWORD
	v_fma_f16 v2, v153, v1, -v2
	v_mul_f16_sdwa v1, v153, v1 dst_sel:DWORD dst_unused:UNUSED_PAD src0_sel:WORD_1 src1_sel:DWORD
	v_sub_f16_e32 v2, v3, v2
	v_fmac_f16_e32 v1, v153, v7
	v_mul_f16_sdwa v7, v151, v5 dst_sel:DWORD dst_unused:UNUSED_PAD src0_sel:WORD_1 src1_sel:DWORD
	v_fma_f16 v3, v3, 2.0, -v2
	v_sub_f16_e32 v1, v6, v1
	v_fmac_f16_e32 v7, v151, v12
	v_fma_f16 v4, v6, 2.0, -v1
	v_pack_b32_f16 v1, v1, v2
	v_lshrrev_b32_e32 v2, 16, v8
	v_sub_f16_e32 v7, v13, v7
	v_pack_b32_f16 v3, v4, v3
	v_lshrrev_b32_e32 v4, 16, v11
	ds_write2st64_b32 v203, v3, v1 offset1:15
	v_mul_f16_sdwa v3, v154, v8 dst_sel:DWORD dst_unused:UNUSED_PAD src0_sel:WORD_1 src1_sel:DWORD
	v_mul_f16_sdwa v1, v154, v2 dst_sel:DWORD dst_unused:UNUSED_PAD src0_sel:WORD_1 src1_sel:DWORD
	;; [unrolled: 1-line block ×3, first 2 shown]
	v_fma_f16 v2, v154, v2, -v3
	v_mul_f16_sdwa v3, v157, v11 dst_sel:DWORD dst_unused:UNUSED_PAD src0_sel:WORD_1 src1_sel:DWORD
	v_fmac_f16_e32 v1, v154, v8
	v_lshrrev_b32_e32 v8, 16, v15
	v_fmac_f16_e32 v6, v157, v11
	v_lshrrev_b32_e32 v11, 16, v16
	v_fma_f16 v3, v157, v4, -v3
	v_mul_f16_sdwa v4, v151, v12 dst_sel:DWORD dst_unused:UNUSED_PAD src0_sel:WORD_1 src1_sel:DWORD
	v_mul_f16_sdwa v12, v148, v8 dst_sel:DWORD dst_unused:UNUSED_PAD src0_sel:WORD_1 src1_sel:DWORD
	v_sub_f16_e32 v1, v9, v1
	v_mul_f16_sdwa v22, v156, v11 dst_sel:DWORD dst_unused:UNUSED_PAD src0_sel:WORD_1 src1_sel:DWORD
	v_sub_f16_e32 v6, v10, v6
	v_fma_f16 v4, v151, v5, -v4
	v_mul_f16_sdwa v5, v148, v15 dst_sel:DWORD dst_unused:UNUSED_PAD src0_sel:WORD_1 src1_sel:DWORD
	v_fmac_f16_e32 v12, v148, v15
	v_lshrrev_b32_e32 v15, 16, v19
	v_fmac_f16_e32 v22, v156, v16
	v_fma_f16 v5, v148, v8, -v5
	v_mul_f16_sdwa v8, v156, v16 dst_sel:DWORD dst_unused:UNUSED_PAD src0_sel:WORD_1 src1_sel:DWORD
	v_lshrrev_b32_e32 v16, 16, v20
	v_fma_f16 v8, v156, v11, -v8
	v_mul_f16_sdwa v11, v174, v15 dst_sel:DWORD dst_unused:UNUSED_PAD src0_sel:WORD_1 src1_sel:DWORD
	v_fma_f16 v15, v174, v15, -v23
	v_lshrrev_b32_e32 v23, 16, v9
	v_mul_f16_sdwa v24, v171, v16 dst_sel:DWORD dst_unused:UNUSED_PAD src0_sel:WORD_1 src1_sel:DWORD
	v_fma_f16 v9, v9, 2.0, -v1
	v_fmac_f16_e32 v11, v174, v19
	v_lshrrev_b32_e32 v19, 16, v10
	v_sub_f16_e32 v2, v23, v2
	v_fmac_f16_e32 v24, v171, v20
	v_mul_f16_sdwa v20, v171, v20 dst_sel:DWORD dst_unused:UNUSED_PAD src0_sel:WORD_1 src1_sel:DWORD
	v_fma_f16 v10, v10, 2.0, -v6
	v_sub_f16_e32 v3, v19, v3
	v_fma_f16 v23, v23, 2.0, -v2
	v_sub_f16_e32 v11, v18, v11
	v_fma_f16 v16, v171, v16, -v20
	v_lshrrev_b32_e32 v20, 16, v13
	v_fma_f16 v19, v19, 2.0, -v3
	v_pack_b32_f16 v9, v9, v23
	v_lshrrev_b32_e32 v23, 16, v14
	v_pack_b32_f16 v3, v6, v3
	v_sub_f16_e32 v4, v20, v4
	v_sub_f16_e32 v6, v14, v12
	v_pack_b32_f16 v10, v10, v19
	v_sub_f16_e32 v5, v23, v5
	v_pack_b32_f16 v1, v1, v2
	v_pack_b32_f16 v12, v7, v4
	v_fma_f16 v4, v20, 2.0, -v4
	v_fma_f16 v7, v13, 2.0, -v7
	;; [unrolled: 1-line block ×3, first 2 shown]
	v_lshrrev_b32_e32 v14, 16, v17
	v_fma_f16 v19, v23, 2.0, -v5
	v_pack_b32_f16 v5, v6, v5
	v_lshrrev_b32_e32 v6, 16, v18
	ds_write2st64_b32 v50, v9, v10 offset0:31 offset1:33
	ds_write2st64_b32 v50, v3, v12 offset0:48 offset1:50
	v_pack_b32_f16 v3, v7, v4
	v_sub_f16_e32 v4, v14, v8
	v_lshrrev_b32_e32 v10, 16, v0
	v_sub_f16_e32 v8, v17, v22
	v_sub_f16_e32 v12, v6, v15
	v_pack_b32_f16 v7, v13, v19
	v_fma_f16 v9, v14, 2.0, -v4
	v_sub_f16_e32 v14, v0, v24
	v_sub_f16_e32 v15, v10, v16
	v_fma_f16 v13, v17, 2.0, -v8
	v_fma_f16 v16, v18, 2.0, -v11
	;; [unrolled: 1-line block ×3, first 2 shown]
	v_pack_b32_f16 v4, v8, v4
	v_fma_f16 v0, v0, 2.0, -v14
	v_fma_f16 v8, v10, 2.0, -v15
	v_pack_b32_f16 v9, v13, v9
	v_pack_b32_f16 v6, v16, v6
	;; [unrolled: 1-line block ×5, first 2 shown]
	ds_write2st64_b32 v50, v3, v7 offset0:35 offset1:37
	ds_write2st64_b32 v50, v5, v4 offset0:52 offset1:54
	;; [unrolled: 1-line block ×5, first 2 shown]
	s_waitcnt lgkmcnt(0)
	s_barrier
	buffer_gl0_inv
	ds_read2st64_b32 v[0:1], v50 offset0:32 offset1:34
	ds_read2st64_b32 v[2:3], v50 offset0:36 offset1:38
	;; [unrolled: 1-line block ×3, first 2 shown]
	s_waitcnt lgkmcnt(2)
	v_lshrrev_b32_e32 v6, 16, v0
	v_mul_f16_sdwa v7, v235, v0 dst_sel:DWORD dst_unused:UNUSED_PAD src0_sel:WORD_1 src1_sel:DWORD
	v_lshrrev_b32_e32 v8, 16, v1
	s_waitcnt lgkmcnt(1)
	v_mul_f16_sdwa v13, v214, v2 dst_sel:DWORD dst_unused:UNUSED_PAD src0_sel:WORD_1 src1_sel:DWORD
	v_mul_f16_sdwa v9, v182, v1 dst_sel:DWORD dst_unused:UNUSED_PAD src0_sel:WORD_1 src1_sel:DWORD
	;; [unrolled: 1-line block ×3, first 2 shown]
	v_fma_f16 v11, v235, v6, -v7
	ds_read2st64_b32 v[6:7], v50 offset0:44 offset1:46
	v_mul_f16_sdwa v12, v182, v8 dst_sel:DWORD dst_unused:UNUSED_PAD src0_sel:WORD_1 src1_sel:DWORD
	v_lshrrev_b32_e32 v15, 16, v3
	v_fmac_f16_e32 v10, v235, v0
	v_lshrrev_b32_e32 v0, 16, v2
	v_fma_f16 v16, v182, v8, -v9
	v_fmac_f16_e32 v12, v182, v1
	v_mul_f16_sdwa v17, v206, v15 dst_sel:DWORD dst_unused:UNUSED_PAD src0_sel:WORD_1 src1_sel:DWORD
	v_mul_f16_sdwa v8, v206, v3 dst_sel:DWORD dst_unused:UNUSED_PAD src0_sel:WORD_1 src1_sel:DWORD
	;; [unrolled: 1-line block ×3, first 2 shown]
	v_fma_f16 v13, v214, v0, -v13
	ds_read2st64_b32 v[0:1], v50 offset0:48 offset1:50
	s_waitcnt lgkmcnt(2)
	v_mul_f16_sdwa v9, v212, v4 dst_sel:DWORD dst_unused:UNUSED_PAD src0_sel:WORD_1 src1_sel:DWORD
	v_lshrrev_b32_e32 v19, 16, v5
	v_fmac_f16_e32 v14, v214, v2
	v_lshrrev_b32_e32 v2, 16, v4
	v_fmac_f16_e32 v17, v206, v3
	v_fma_f16 v15, v206, v15, -v8
	v_mul_f16_sdwa v22, v207, v19 dst_sel:DWORD dst_unused:UNUSED_PAD src0_sel:WORD_1 src1_sel:DWORD
	v_mul_f16_sdwa v18, v212, v2 dst_sel:DWORD dst_unused:UNUSED_PAD src0_sel:WORD_1 src1_sel:DWORD
	v_fma_f16 v20, v212, v2, -v9
	s_waitcnt lgkmcnt(1)
	v_lshrrev_b32_e32 v8, 16, v6
	ds_read2st64_b32 v[2:3], v50 offset0:52 offset1:54
	v_mul_f16_sdwa v9, v215, v6 dst_sel:DWORD dst_unused:UNUSED_PAD src0_sel:WORD_1 src1_sel:DWORD
	v_fmac_f16_e32 v18, v212, v4
	v_mul_f16_sdwa v4, v207, v5 dst_sel:DWORD dst_unused:UNUSED_PAD src0_sel:WORD_1 src1_sel:DWORD
	v_mul_f16_sdwa v23, v215, v8 dst_sel:DWORD dst_unused:UNUSED_PAD src0_sel:WORD_1 src1_sel:DWORD
	v_lshrrev_b32_e32 v24, 16, v7
	v_fmac_f16_e32 v22, v207, v5
	v_fma_f16 v25, v215, v8, -v9
	v_fma_f16 v19, v207, v19, -v4
	ds_read2st64_b32 v[4:5], v50 offset0:28 offset1:30
	v_fmac_f16_e32 v23, v215, v6
	v_mul_f16_sdwa v26, v230, v24 dst_sel:DWORD dst_unused:UNUSED_PAD src0_sel:WORD_1 src1_sel:DWORD
	s_waitcnt lgkmcnt(2)
	v_lshrrev_b32_e32 v6, 16, v0
	v_mul_f16_sdwa v8, v230, v7 dst_sel:DWORD dst_unused:UNUSED_PAD src0_sel:WORD_1 src1_sel:DWORD
	v_mul_f16_sdwa v9, v237, v0 dst_sel:DWORD dst_unused:UNUSED_PAD src0_sel:WORD_1 src1_sel:DWORD
	v_lshrrev_b32_e32 v28, 16, v1
	v_fmac_f16_e32 v26, v230, v7
	v_mul_f16_sdwa v27, v237, v6 dst_sel:DWORD dst_unused:UNUSED_PAD src0_sel:WORD_1 src1_sel:DWORD
	v_fma_f16 v24, v230, v24, -v8
	v_fma_f16 v29, v237, v6, -v9
	ds_read2st64_b32 v[6:7], v50 offset0:56 offset1:58
	ds_read2st64_b32 v[8:9], v50 offset1:2
	v_mul_f16_sdwa v30, v238, v28 dst_sel:DWORD dst_unused:UNUSED_PAD src0_sel:WORD_1 src1_sel:DWORD
	s_waitcnt lgkmcnt(3)
	v_lshrrev_b32_e32 v31, 16, v2
	v_lshrrev_b32_e32 v32, 16, v3
	v_fmac_f16_e32 v27, v237, v0
	v_mul_f16_sdwa v0, v238, v1 dst_sel:DWORD dst_unused:UNUSED_PAD src0_sel:WORD_1 src1_sel:DWORD
	v_fmac_f16_e32 v30, v238, v1
	v_mul_f16_sdwa v34, v239, v31 dst_sel:DWORD dst_unused:UNUSED_PAD src0_sel:WORD_1 src1_sel:DWORD
	v_mul_f16_sdwa v35, v242, v32 dst_sel:DWORD dst_unused:UNUSED_PAD src0_sel:WORD_1 src1_sel:DWORD
	s_waitcnt lgkmcnt(2)
	v_lshrrev_b32_e32 v1, 16, v5
	v_mul_f16_sdwa v33, v239, v2 dst_sel:DWORD dst_unused:UNUSED_PAD src0_sel:WORD_1 src1_sel:DWORD
	v_fma_f16 v28, v238, v28, -v0
	v_mul_f16_sdwa v0, v242, v3 dst_sel:DWORD dst_unused:UNUSED_PAD src0_sel:WORD_1 src1_sel:DWORD
	v_fmac_f16_e32 v34, v239, v2
	v_fmac_f16_e32 v35, v242, v3
	v_mul_f16_sdwa v2, v176, v5 dst_sel:DWORD dst_unused:UNUSED_PAD src0_sel:WORD_1 src1_sel:DWORD
	v_mul_f16_sdwa v3, v176, v1 dst_sel:DWORD dst_unused:UNUSED_PAD src0_sel:WORD_1 src1_sel:DWORD
	v_fma_f16 v31, v239, v31, -v33
	v_fma_f16 v32, v242, v32, -v0
	s_waitcnt lgkmcnt(1)
	v_lshrrev_b32_e32 v33, 16, v6
	v_mul_f16_sdwa v36, v218, v6 dst_sel:DWORD dst_unused:UNUSED_PAD src0_sel:WORD_1 src1_sel:DWORD
	v_fma_f16 v2, v176, v1, -v2
	ds_read2st64_b32 v[0:1], v50 offset0:4 offset1:6
	v_fmac_f16_e32 v3, v176, v5
	s_waitcnt lgkmcnt(1)
	v_lshrrev_b32_e32 v5, 16, v8
	v_mul_f16_sdwa v37, v218, v33 dst_sel:DWORD dst_unused:UNUSED_PAD src0_sel:WORD_1 src1_sel:DWORD
	v_fma_f16 v33, v218, v33, -v36
	v_lshrrev_b32_e32 v38, 16, v7
	v_sub_f16_e32 v36, v8, v3
	v_sub_f16_e32 v39, v5, v2
	v_fmac_f16_e32 v37, v218, v6
	v_sub_f16_e32 v6, v9, v10
	v_mul_f16_sdwa v40, v205, v38 dst_sel:DWORD dst_unused:UNUSED_PAD src0_sel:WORD_1 src1_sel:DWORD
	v_fma_f16 v2, v8, 2.0, -v36
	v_fma_f16 v3, v5, 2.0, -v39
	v_lshrrev_b32_e32 v5, 16, v9
	v_fma_f16 v8, v9, 2.0, -v6
	v_fmac_f16_e32 v40, v205, v7
	v_mul_f16_sdwa v7, v205, v7 dst_sel:DWORD dst_unused:UNUSED_PAD src0_sel:WORD_1 src1_sel:DWORD
	v_pack_b32_f16 v9, v2, v3
	ds_read2st64_b32 v[2:3], v50 offset0:8 offset1:10
	v_sub_f16_e32 v10, v5, v11
	s_waitcnt lgkmcnt(1)
	v_lshrrev_b32_e32 v11, 16, v0
	v_sub_f16_e32 v12, v0, v12
	v_fma_f16 v7, v205, v38, -v7
	v_fma_f16 v5, v5, 2.0, -v10
	v_sub_f16_e32 v16, v11, v16
	v_pack_b32_f16 v6, v6, v10
	v_lshrrev_b32_e32 v10, 16, v1
	v_fma_f16 v0, v0, 2.0, -v12
	v_pack_b32_f16 v5, v8, v5
	v_pack_b32_f16 v8, v12, v16
	ds_write2st64_b32 v50, v9, v5 offset1:2
	ds_write2st64_b32 v50, v6, v8 offset0:32 offset1:34
	v_fma_f16 v8, v11, 2.0, -v16
	v_sub_f16_e32 v11, v10, v13
	ds_read2st64_b32 v[5:6], v50 offset0:12 offset1:14
	s_waitcnt lgkmcnt(3)
	v_lshrrev_b32_e32 v13, 16, v2
	v_sub_f16_e32 v9, v1, v14
	v_sub_f16_e32 v12, v2, v17
	v_fma_f16 v10, v10, 2.0, -v11
	v_sub_f16_e32 v16, v3, v18
	v_sub_f16_e32 v14, v13, v15
	v_lshrrev_b32_e32 v15, 16, v3
	v_fma_f16 v1, v1, 2.0, -v9
	v_pack_b32_f16 v8, v0, v8
	v_pack_b32_f16 v9, v9, v11
	;; [unrolled: 1-line block ×3, first 2 shown]
	v_sub_f16_e32 v17, v15, v20
	v_pack_b32_f16 v10, v1, v10
	v_fma_f16 v13, v13, 2.0, -v14
	v_fma_f16 v2, v2, 2.0, -v12
	;; [unrolled: 1-line block ×4, first 2 shown]
	ds_read2st64_b32 v[0:1], v50 offset0:16 offset1:18
	ds_write2st64_b32 v50, v8, v10 offset0:4 offset1:6
	ds_write2st64_b32 v50, v9, v11 offset0:36 offset1:38
	s_waitcnt lgkmcnt(3)
	v_lshrrev_b32_e32 v8, 16, v5
	v_pack_b32_f16 v9, v2, v13
	v_pack_b32_f16 v10, v3, v12
	v_lshrrev_b32_e32 v12, 16, v6
	ds_read2st64_b32 v[2:3], v50 offset0:20 offset1:22
	v_sub_f16_e32 v11, v5, v22
	v_sub_f16_e32 v13, v8, v19
	;; [unrolled: 1-line block ×3, first 2 shown]
	ds_write2st64_b32 v50, v9, v10 offset0:8 offset1:10
	v_sub_f16_e32 v9, v12, v25
	v_fma_f16 v5, v5, 2.0, -v11
	v_fma_f16 v8, v8, 2.0, -v13
	;; [unrolled: 1-line block ×3, first 2 shown]
	v_pack_b32_f16 v15, v16, v17
	v_fma_f16 v12, v12, 2.0, -v9
	v_pack_b32_f16 v11, v11, v13
	v_pack_b32_f16 v8, v5, v8
	;; [unrolled: 1-line block ×3, first 2 shown]
	s_waitcnt lgkmcnt(4)
	v_lshrrev_b32_e32 v10, 16, v0
	v_pack_b32_f16 v12, v6, v12
	ds_read2st64_b32 v[5:6], v50 offset0:24 offset1:26
	v_lshrrev_b32_e32 v16, 16, v1
	v_sub_f16_e32 v14, v0, v26
	v_sub_f16_e32 v13, v10, v24
	;; [unrolled: 1-line block ×3, first 2 shown]
	s_waitcnt lgkmcnt(2)
	v_lshrrev_b32_e32 v19, 16, v2
	v_sub_f16_e32 v18, v16, v29
	v_fma_f16 v0, v0, 2.0, -v14
	v_fma_f16 v10, v10, 2.0, -v13
	;; [unrolled: 1-line block ×3, first 2 shown]
	v_sub_f16_e32 v20, v2, v30
	v_fma_f16 v16, v16, 2.0, -v18
	v_sub_f16_e32 v22, v19, v28
	v_pack_b32_f16 v13, v14, v13
	v_pack_b32_f16 v0, v0, v10
	;; [unrolled: 1-line block ×5, first 2 shown]
	ds_write2st64_b32 v50, v15, v11 offset0:40 offset1:42
	ds_write2st64_b32 v50, v8, v12 offset0:12 offset1:14
	;; [unrolled: 1-line block ×5, first 2 shown]
	v_lshrrev_b32_e32 v8, 16, v3
	s_waitcnt lgkmcnt(5)
	v_lshrrev_b32_e32 v11, 16, v5
	v_lshrrev_b32_e32 v13, 16, v6
	;; [unrolled: 1-line block ×3, first 2 shown]
	v_sub_f16_e32 v0, v3, v34
	v_sub_f16_e32 v15, v8, v31
	;; [unrolled: 1-line block ×8, first 2 shown]
	v_fma_f16 v1, v19, 2.0, -v22
	v_fma_f16 v2, v2, 2.0, -v20
	;; [unrolled: 1-line block ×10, first 2 shown]
	v_pack_b32_f16 v1, v2, v1
	v_pack_b32_f16 v2, v3, v8
	v_pack_b32_f16 v0, v0, v15
	v_pack_b32_f16 v3, v5, v11
	v_pack_b32_f16 v5, v9, v16
	v_pack_b32_f16 v6, v6, v13
	v_pack_b32_f16 v18, v36, v39
	v_pack_b32_f16 v4, v4, v14
	v_pack_b32_f16 v8, v10, v17
	v_pack_b32_f16 v7, v12, v7
	ds_write2st64_b32 v50, v1, v2 offset0:20 offset1:22
	ds_write2st64_b32 v50, v0, v5 offset0:52 offset1:54
	;; [unrolled: 1-line block ×5, first 2 shown]
	s_waitcnt lgkmcnt(0)
	s_barrier
	buffer_gl0_inv
	ds_read2st64_b32 v[12:13], v50 offset1:2
	v_mad_u64_u32 v[19:20], null, s8, v217, 0
	s_waitcnt lgkmcnt(0)
	v_lshrrev_b32_e32 v0, 16, v12
	v_mul_f16_sdwa v2, v72, v12 dst_sel:DWORD dst_unused:UNUSED_PAD src0_sel:WORD_1 src1_sel:DWORD
	v_mul_f16_sdwa v1, v72, v0 dst_sel:DWORD dst_unused:UNUSED_PAD src0_sel:WORD_1 src1_sel:DWORD
	v_fma_f16 v0, v72, v0, -v2
	v_fmac_f16_e32 v1, v72, v12
	v_cvt_f32_f16_e32 v0, v0
	v_cvt_f32_f16_e32 v1, v1
	v_cvt_f64_f32_e32 v[5:6], v0
	v_cvt_f64_f32_e32 v[3:4], v1
	ds_read2st64_b32 v[1:2], v50 offset0:4 offset1:6
	s_waitcnt lgkmcnt(0)
	v_lshrrev_b32_e32 v0, 16, v2
	v_mul_f64 v[7:8], v[3:4], s[6:7]
	v_mul_f64 v[3:4], v[5:6], s[6:7]
	v_mul_f16_sdwa v9, v71, v2 dst_sel:DWORD dst_unused:UNUSED_PAD src0_sel:WORD_1 src1_sel:DWORD
	v_mul_f16_sdwa v5, v71, v0 dst_sel:DWORD dst_unused:UNUSED_PAD src0_sel:WORD_1 src1_sel:DWORD
	v_fma_f16 v0, v71, v0, -v9
	v_fmac_f16_e32 v5, v71, v2
	v_cvt_f32_f16_e32 v0, v0
	v_cvt_f32_f16_e32 v2, v5
	v_and_or_b32 v10, 0x1ff, v8, v7
	ds_read2st64_b32 v[6:7], v50 offset0:12 offset1:14
	v_and_or_b32 v12, 0x1ff, v4, v3
	v_cvt_f64_f32_e32 v[2:3], v2
	v_lshrrev_b32_e32 v11, 8, v8
	v_cmp_ne_u32_e32 vcc_lo, 0, v10
	v_cvt_f64_f32_e32 v[9:10], v0
	v_bfe_u32 v26, v4, 20, 11
	v_bfe_u32 v24, v8, 20, 11
	v_lshrrev_b32_e32 v8, 16, v8
	v_cndmask_b32_e64 v5, 0, 1, vcc_lo
	v_cmp_ne_u32_e32 vcc_lo, 0, v12
	v_sub_nc_u32_e32 v14, 0x3f1, v24
	v_and_or_b32 v29, 0xffe, v11, v5
	v_cndmask_b32_e64 v0, 0, 1, vcc_lo
	v_lshrrev_b32_e32 v5, 8, v4
	v_mad_u64_u32 v[11:12], null, s10, v21, 0
	v_or_b32_e32 v30, 0x1000, v29
	s_waitcnt lgkmcnt(0)
	v_lshrrev_b32_e32 v23, 16, v6
	v_and_or_b32 v31, 0xffe, v5, v0
	v_sub_nc_u32_e32 v0, 0x3f1, v26
	v_med3_i32 v14, v14, 0, 13
	v_mul_f64 v[15:16], v[2:3], s[6:7]
	v_mul_f16_sdwa v5, v69, v23 dst_sel:DWORD dst_unused:UNUSED_PAD src0_sel:WORD_1 src1_sel:DWORD
	v_mov_b32_e32 v2, v20
	v_med3_i32 v25, v0, 0, 13
	v_mov_b32_e32 v0, v12
	v_mul_f64 v[17:18], v[9:10], s[6:7]
	v_fmac_f16_e32 v5, v69, v6
	v_lshrrev_b32_e32 v33, v14, v30
	v_or_b32_e32 v32, 0x1000, v31
	v_mad_u64_u32 v[9:10], null, s11, v21, v[0:1]
	v_cvt_f32_f16_e32 v3, v5
	v_mul_f16_sdwa v0, v69, v6 dst_sel:DWORD dst_unused:UNUSED_PAD src0_sel:WORD_1 src1_sel:DWORD
	v_lshlrev_b32_e32 v35, v14, v33
	v_lshrrev_b32_e32 v34, v25, v32
	v_lshrrev_b32_e32 v4, 16, v4
	v_cvt_f64_f32_e32 v[21:22], v3
	v_mad_u64_u32 v[2:3], null, s9, v217, v[2:3]
	v_fma_f16 v0, v69, v23, -v0
	v_mov_b32_e32 v12, v9
	v_lshlrev_b32_e32 v36, v25, v34
	v_cvt_f32_f16_e32 v0, v0
	v_mov_b32_e32 v20, v2
	v_and_or_b32 v2, 0x1ff, v16, v15
	v_and_or_b32 v3, 0x1ff, v18, v17
	v_lshlrev_b64 v[9:10], 2, v[11:12]
	v_bfe_u32 v12, v16, 20, 11
	v_lshlrev_b64 v[14:15], 2, v[19:20]
	v_cvt_f64_f32_e32 v[19:20], v0
	v_cmp_ne_u32_e32 vcc_lo, 0, v2
	v_lshrrev_b32_e32 v2, 8, v16
	v_bfe_u32 v11, v18, 20, 11
	v_cndmask_b32_e64 v0, 0, 1, vcc_lo
	v_mul_f64 v[5:6], v[21:22], s[6:7]
	v_cmp_ne_u32_e32 vcc_lo, 0, v3
	v_lshrrev_b32_e32 v22, 8, v18
	v_and_or_b32 v17, 0xffe, v2, v0
	ds_read2st64_b32 v[2:3], v50 offset0:16 offset1:18
	v_cndmask_b32_e64 v21, 0, 1, vcc_lo
	v_sub_nc_u32_e32 v0, 0x3f1, v12
	v_add_co_u32 v9, vcc_lo, s0, v9
	v_add_co_ci_u32_e32 v10, vcc_lo, s1, v10, vcc_lo
	v_and_or_b32 v25, 0xffe, v22, v21
	v_sub_nc_u32_e32 v21, 0x3f1, v11
	v_or_b32_e32 v37, 0x1000, v17
	v_mul_f64 v[19:20], v[19:20], s[6:7]
	v_med3_i32 v0, v0, 0, 13
	v_add_co_u32 v27, vcc_lo, v9, v14
	v_add_co_ci_u32_e32 v28, vcc_lo, v10, v15, vcc_lo
	v_med3_i32 v21, v21, 0, 13
	v_and_or_b32 v5, 0x1ff, v6, v5
	v_bfe_u32 v23, v6, 20, 11
	v_or_b32_e32 v38, 0x1000, v25
	v_lshrrev_b32_e32 v39, v0, v37
	s_waitcnt lgkmcnt(0)
	v_lshrrev_b32_e32 v9, 16, v3
	v_cmp_ne_u32_e32 vcc_lo, 0, v5
	v_sub_nc_u32_e32 v14, 0x3f1, v23
	v_lshrrev_b32_e32 v40, v21, v38
	v_lshrrev_b32_e32 v10, 8, v6
	v_mul_f16_sdwa v15, v70, v9 dst_sel:DWORD dst_unused:UNUSED_PAD src0_sel:WORD_1 src1_sel:DWORD
	v_cndmask_b32_e64 v5, 0, 1, vcc_lo
	v_lshlrev_b32_e32 v41, v0, v39
	v_med3_i32 v0, v14, 0, 13
	v_cmp_ne_u32_e32 vcc_lo, v35, v30
	v_lshlrev_b32_e32 v42, v21, v40
	v_and_or_b32 v14, 0x1ff, v20, v19
	v_and_or_b32 v5, 0xffe, v10, v5
	v_fmac_f16_e32 v15, v70, v3
	v_cndmask_b32_e64 v10, 0, 1, vcc_lo
	v_add_nc_u32_e32 v21, 0xfffffc10, v24
	v_cmp_ne_u32_e32 vcc_lo, 0, v14
	v_mul_f16_sdwa v3, v70, v3 dst_sel:DWORD dst_unused:UNUSED_PAD src0_sel:WORD_1 src1_sel:DWORD
	v_cvt_f32_f16_e32 v15, v15
	v_or_b32_e32 v19, v33, v10
	v_lshl_or_b32 v22, v21, 12, v29
	v_cndmask_b32_e64 v14, 0, 1, vcc_lo
	v_cmp_gt_i32_e32 vcc_lo, 1, v21
	v_fma_f16 v3, v70, v9, -v3
	v_cvt_f64_f32_e32 v[9:10], v15
	v_add_nc_u32_e32 v24, 0xfffffc10, v26
	v_or_b32_e32 v30, 0x1000, v5
	v_cndmask_b32_e32 v15, v22, v19, vcc_lo
	v_cmp_ne_u32_e32 vcc_lo, v36, v32
	v_lshrrev_b32_e32 v19, 8, v20
	v_cmp_gt_i32_e64 s1, 1, v24
	v_cvt_f32_f16_e32 v3, v3
	v_and_b32_e32 v26, 7, v15
	v_cndmask_b32_e64 v22, 0, 1, vcc_lo
	v_lshrrev_b32_e32 v15, 2, v15
	v_and_or_b32 v19, 0xffe, v19, v14
	v_cmp_lt_i32_e32 vcc_lo, 5, v26
	v_cmp_eq_u32_e64 s0, 3, v26
	v_or_b32_e32 v14, v34, v22
	v_lshl_or_b32 v22, v24, 12, v31
	v_bfe_u32 v26, v20, 20, 11
	v_or_b32_e32 v34, 0x1000, v19
	s_or_b32 vcc_lo, s0, vcc_lo
	v_add_co_ci_u32_e32 v32, vcc_lo, 0, v15, vcc_lo
	v_cndmask_b32_e64 v22, v22, v14, s1
	v_cmp_ne_u32_e32 vcc_lo, 0, v29
	v_mul_f64 v[14:15], v[9:10], s[6:7]
	v_cmp_eq_u32_e64 s1, 0x40f, v21
	v_and_b32_e32 v9, 7, v22
	v_cndmask_b32_e64 v29, 0, 1, vcc_lo
	v_cmp_gt_i32_e32 vcc_lo, 31, v21
	v_cmp_eq_u32_e64 s0, 3, v9
	v_lshl_or_b32 v29, v29, 9, 0x7c00
	v_cndmask_b32_e32 v10, 0x7c00, v32, vcc_lo
	v_cmp_lt_i32_e32 vcc_lo, 5, v9
	v_lshrrev_b32_e32 v9, 2, v22
	v_cvt_f64_f32_e32 v[21:22], v3
	v_sub_nc_u32_e32 v32, 0x3f1, v26
	v_cndmask_b32_e64 v29, v10, v29, s1
	s_or_b32 vcc_lo, s0, vcc_lo
	s_mul_i32 s0, s9, 0x600
	v_add_co_ci_u32_e32 v33, vcc_lo, 0, v9, vcc_lo
	v_cmp_ne_u32_e32 vcc_lo, 0, v31
	ds_read2st64_b32 v[9:10], v50 offset0:24 offset1:26
	v_and_or_b32 v8, 0x8000, v8, v29
	v_and_or_b32 v14, 0x1ff, v15, v14
	s_add_i32 s4, s4, s0
	v_cndmask_b32_e64 v31, 0, 1, vcc_lo
	v_cmp_gt_i32_e32 vcc_lo, 31, v24
	v_bfe_u32 v35, v15, 20, 11
	v_med3_i32 v32, v32, 0, 13
	v_lshl_or_b32 v31, v31, 9, 0x7c00
	v_cndmask_b32_e32 v3, 0x7c00, v33, vcc_lo
	v_cmp_eq_u32_e32 vcc_lo, 0x40f, v24
	v_lshrrev_b32_e32 v33, v0, v30
	v_lshrrev_b32_e32 v24, 8, v15
	v_mul_f64 v[21:22], v[21:22], s[6:7]
	v_lshrrev_b32_e32 v29, v32, v34
	v_cndmask_b32_e32 v3, v3, v31, vcc_lo
	v_cmp_ne_u32_e32 vcc_lo, 0, v14
	s_waitcnt lgkmcnt(0)
	v_lshrrev_b32_e32 v31, 16, v9
	v_and_or_b32 v3, 0x8000, v4, v3
	v_and_b32_e32 v4, 0xffff, v8
	v_cndmask_b32_e64 v14, 0, 1, vcc_lo
	v_lshlrev_b32_e32 v8, v0, v33
	v_lshlrev_b32_e32 v32, v32, v29
	v_lshl_or_b32 v3, v3, 16, v4
	v_mul_f16_sdwa v4, v68, v31 dst_sel:DWORD dst_unused:UNUSED_PAD src0_sel:WORD_1 src1_sel:DWORD
	v_and_or_b32 v0, 0xffe, v24, v14
	v_add_nc_u32_e32 v14, 0xfffffc10, v12
	v_sub_nc_u32_e32 v12, 0x3f1, v35
	global_store_dword v[27:28], v3, off
	v_fmac_f16_e32 v4, v68, v9
	v_add_co_u32 v27, vcc_lo, v27, s5
	v_add_co_ci_u32_e32 v28, vcc_lo, s4, v28, vcc_lo
	v_mul_f16_sdwa v3, v68, v9 dst_sel:DWORD dst_unused:UNUSED_PAD src0_sel:WORD_1 src1_sel:DWORD
	v_cvt_f32_f16_e32 v4, v4
	v_cmp_ne_u32_e32 vcc_lo, v41, v37
	v_lshl_or_b32 v24, v14, 12, v17
	v_and_or_b32 v21, 0x1ff, v22, v21
	v_fma_f16 v31, v68, v31, -v3
	v_cvt_f64_f32_e32 v[3:4], v4
	v_cndmask_b32_e64 v9, 0, 1, vcc_lo
	v_cmp_gt_i32_e32 vcc_lo, 1, v14
	v_med3_i32 v36, v12, 0, 13
	v_or_b32_e32 v41, 0x1000, v0
	v_add_nc_u32_e32 v35, 0xfffffc10, v35
	v_or_b32_e32 v9, v39, v9
	v_add_nc_u32_e32 v39, 0xfffffc10, v11
	v_cndmask_b32_e32 v9, v24, v9, vcc_lo
	v_cmp_ne_u32_e32 vcc_lo, 0, v21
	v_lshrrev_b32_e32 v21, 8, v22
	v_cmp_gt_i32_e64 s1, 1, v39
	v_and_b32_e32 v37, 7, v9
	v_cndmask_b32_e64 v12, 0, 1, vcc_lo
	v_cmp_ne_u32_e32 vcc_lo, v42, v38
	v_lshrrev_b32_e32 v42, 16, v6
	v_cmp_eq_u32_e64 s0, 3, v37
	v_and_or_b32 v24, 0xffe, v21, v12
	v_cndmask_b32_e64 v38, 0, 1, vcc_lo
	v_cmp_lt_i32_e32 vcc_lo, 5, v37
	v_mul_f64 v[11:12], v[3:4], s[6:7]
	v_lshrrev_b32_e32 v3, 2, v9
	v_or_b32_e32 v21, v40, v38
	s_or_b32 vcc_lo, s0, vcc_lo
	v_lshl_or_b32 v38, v39, 12, v25
	v_add_co_ci_u32_e32 v3, vcc_lo, 0, v3, vcc_lo
	v_cmp_ne_u32_e32 vcc_lo, 0, v17
	v_cvt_f32_f16_e32 v17, v31
	v_cndmask_b32_e64 v9, v38, v21, s1
	v_bfe_u32 v38, v22, 20, 11
	v_cmp_eq_u32_e64 s1, 0x40f, v14
	v_cndmask_b32_e64 v4, 0, 1, vcc_lo
	v_cmp_gt_i32_e32 vcc_lo, 31, v14
	v_and_b32_e32 v21, 7, v9
	v_lshrrev_b32_e32 v9, 2, v9
	v_lshrrev_b32_e32 v40, v36, v41
	v_lshl_or_b32 v37, v4, 9, 0x7c00
	v_cndmask_b32_e32 v31, 0x7c00, v3, vcc_lo
	v_cvt_f64_f32_e32 v[3:4], v17
	v_cmp_lt_i32_e32 vcc_lo, 5, v21
	v_cmp_eq_u32_e64 s0, 3, v21
	v_sub_nc_u32_e32 v17, 0x3f1, v38
	v_and_or_b32 v11, 0x1ff, v12, v11
	v_cndmask_b32_e64 v14, v31, v37, s1
	v_lshrrev_b32_e32 v31, 16, v16
	s_or_b32 vcc_lo, s0, vcc_lo
	v_or_b32_e32 v37, 0x1000, v24
	v_add_co_ci_u32_e32 v9, vcc_lo, 0, v9, vcc_lo
	v_cmp_ne_u32_e32 vcc_lo, 0, v25
	v_med3_i32 v25, v17, 0, 13
	v_cndmask_b32_e64 v21, 0, 1, vcc_lo
	v_cmp_gt_i32_e32 vcc_lo, 31, v39
	v_lshl_or_b32 v21, v21, 9, 0x7c00
	v_cndmask_b32_e32 v9, 0x7c00, v9, vcc_lo
	v_cmp_eq_u32_e32 vcc_lo, 0x40f, v39
	v_mul_f64 v[16:17], v[3:4], s[6:7]
	v_lshrrev_b32_e32 v4, 16, v18
	v_add_nc_u32_e32 v18, 0xfffffc10, v23
	v_lshrrev_b32_e32 v39, v25, v37
	v_cndmask_b32_e32 v3, v9, v21, vcc_lo
	v_cmp_ne_u32_e32 vcc_lo, 0, v11
	v_and_or_b32 v9, 0x8000, v31, v14
	v_bfe_u32 v21, v12, 20, 11
	v_lshrrev_b32_e32 v14, 8, v12
	v_and_or_b32 v3, 0x8000, v4, v3
	v_cndmask_b32_e64 v11, 0, 1, vcc_lo
	v_cmp_ne_u32_e32 vcc_lo, v8, v30
	v_and_b32_e32 v4, 0xffff, v9
	v_sub_nc_u32_e32 v9, 0x3f1, v21
	v_lshrrev_b32_e32 v12, 16, v12
	v_and_or_b32 v11, 0xffe, v14, v11
	v_cndmask_b32_e64 v8, 0, 1, vcc_lo
	v_lshl_or_b32 v23, v3, 16, v4
	ds_read2st64_b32 v[3:4], v50 offset0:28 offset1:30
	v_lshl_or_b32 v14, v18, 12, v5
	v_cmp_gt_i32_e32 vcc_lo, 1, v18
	v_or_b32_e32 v8, v33, v8
	v_med3_i32 v33, v9, 0, 13
	v_and_or_b32 v9, 0x1ff, v17, v16
	global_store_dword v[27:28], v23, off
	v_cndmask_b32_e32 v8, v14, v8, vcc_lo
	v_add_co_u32 v30, vcc_lo, v27, s5
	v_add_co_ci_u32_e32 v31, vcc_lo, s4, v28, vcc_lo
	v_cmp_ne_u32_e32 vcc_lo, 0, v9
	v_and_b32_e32 v16, 7, v8
	v_lshrrev_b32_e32 v8, 2, v8
	v_lshrrev_b32_e32 v14, 8, v17
	v_add_nc_u32_e32 v27, 0xfffffc10, v26
	v_cndmask_b32_e64 v9, 0, 1, vcc_lo
	v_cmp_ne_u32_e32 vcc_lo, v32, v34
	s_waitcnt lgkmcnt(0)
	v_lshrrev_b32_e32 v32, 16, v4
	v_cmp_eq_u32_e64 s0, 3, v16
	v_cmp_gt_i32_e64 s1, 1, v27
	v_and_or_b32 v14, 0xffe, v14, v9
	v_cndmask_b32_e64 v23, 0, 1, vcc_lo
	v_cmp_lt_i32_e32 vcc_lo, 5, v16
	v_mul_f16_sdwa v26, v67, v32 dst_sel:DWORD dst_unused:UNUSED_PAD src0_sel:WORD_1 src1_sel:DWORD
	v_or_b32_e32 v34, 0x1000, v11
	v_or_b32_e32 v9, v29, v23
	s_or_b32 vcc_lo, s0, vcc_lo
	v_lshl_or_b32 v23, v27, 12, v19
	v_add_co_ci_u32_e32 v8, vcc_lo, 0, v8, vcc_lo
	v_fmac_f16_e32 v26, v67, v4
	v_cmp_ne_u32_e32 vcc_lo, 0, v5
	v_cndmask_b32_e64 v16, v23, v9, s1
	v_cmp_eq_u32_e64 s1, 0x40f, v18
	v_mul_f16_sdwa v4, v67, v4 dst_sel:DWORD dst_unused:UNUSED_PAD src0_sel:WORD_1 src1_sel:DWORD
	v_cvt_f32_f16_e32 v9, v26
	v_cndmask_b32_e64 v5, 0, 1, vcc_lo
	v_cmp_gt_i32_e32 vcc_lo, 31, v18
	v_and_b32_e32 v23, 7, v16
	v_bfe_u32 v26, v17, 20, 11
	v_lshrrev_b32_e32 v16, 2, v16
	v_lshl_or_b32 v5, v5, 9, 0x7c00
	v_cndmask_b32_e32 v28, 0x7c00, v8, vcc_lo
	v_cvt_f64_f32_e32 v[8:9], v9
	v_cmp_lt_i32_e32 vcc_lo, 5, v23
	v_cmp_eq_u32_e64 s0, 3, v23
	v_fma_f16 v4, v67, v32, -v4
	v_cndmask_b32_e64 v18, v28, v5, s1
	v_sub_nc_u32_e32 v5, 0x3f1, v26
	v_or_b32_e32 v28, 0x1000, v14
	s_or_b32 vcc_lo, s0, vcc_lo
	v_cvt_f32_f16_e32 v4, v4
	v_add_co_ci_u32_e32 v16, vcc_lo, 0, v16, vcc_lo
	v_cmp_ne_u32_e32 vcc_lo, 0, v19
	v_med3_i32 v23, v5, 0, 13
	v_and_or_b32 v18, 0x8000, v42, v18
	v_lshrrev_b32_e32 v43, v33, v34
	v_cndmask_b32_e64 v19, 0, 1, vcc_lo
	v_cmp_gt_i32_e32 vcc_lo, 31, v27
	v_lshlrev_b32_e32 v33, v33, v43
	v_lshl_or_b32 v19, v19, 9, 0x7c00
	v_mul_f64 v[5:6], v[8:9], s[6:7]
	v_cndmask_b32_e32 v16, 0x7c00, v16, vcc_lo
	v_cmp_eq_u32_e32 vcc_lo, 0x40f, v27
	v_lshlrev_b32_e32 v9, v36, v40
	v_lshrrev_b32_e32 v27, v23, v28
	v_cndmask_b32_e32 v8, v16, v19, vcc_lo
	v_lshlrev_b32_e32 v16, v25, v39
	v_cmp_ne_u32_e32 vcc_lo, v9, v41
	v_lshrrev_b32_e32 v19, 16, v20
	v_and_b32_e32 v41, 0xffff, v18
	v_lshlrev_b32_e32 v29, v23, v27
	v_cndmask_b32_e64 v9, 0, 1, vcc_lo
	v_cmp_ne_u32_e32 vcc_lo, v16, v37
	v_and_or_b32 v36, 0x8000, v19, v8
	v_lshl_or_b32 v19, v35, 12, v0
	v_add_nc_u32_e32 v37, 0xfffffc10, v38
	v_or_b32_e32 v18, v40, v9
	v_cndmask_b32_e64 v16, 0, 1, vcc_lo
	v_cmp_gt_i32_e32 vcc_lo, 1, v35
	v_and_or_b32 v5, 0x1ff, v6, v5
	ds_read2st64_b32 v[8:9], v50 offset0:36 offset1:38
	v_lshrrev_b32_e32 v20, 8, v6
	v_or_b32_e32 v16, v39, v16
	v_cndmask_b32_e32 v18, v19, v18, vcc_lo
	v_cmp_ne_u32_e32 vcc_lo, 0, v5
	v_lshl_or_b32 v19, v37, 12, v24
	v_cndmask_b32_e64 v5, 0, 1, vcc_lo
	v_cmp_gt_i32_e32 vcc_lo, 1, v37
	v_and_or_b32 v25, 0xffe, v20, v5
	v_cndmask_b32_e32 v16, v19, v16, vcc_lo
	v_and_b32_e32 v19, 7, v18
	v_lshrrev_b32_e32 v18, 2, v18
	v_cvt_f64_f32_e32 v[4:5], v4
	v_bfe_u32 v20, v6, 20, 11
	s_waitcnt lgkmcnt(0)
	v_lshrrev_b32_e32 v32, 16, v8
	v_cmp_lt_i32_e32 vcc_lo, 5, v19
	v_cmp_eq_u32_e64 s0, 3, v19
	v_and_b32_e32 v23, 7, v16
	v_lshrrev_b32_e32 v16, 2, v16
	v_mul_f16_sdwa v19, v65, v32 dst_sel:DWORD dst_unused:UNUSED_PAD src0_sel:WORD_1 src1_sel:DWORD
	v_lshrrev_b32_e32 v6, 16, v6
	s_or_b32 vcc_lo, s0, vcc_lo
	v_cmp_lt_i32_e64 s1, 5, v23
	v_add_co_ci_u32_e32 v18, vcc_lo, 0, v18, vcc_lo
	v_cmp_ne_u32_e32 vcc_lo, 0, v0
	v_cmp_eq_u32_e64 s2, 3, v23
	v_fmac_f16_e32 v19, v65, v8
	v_cndmask_b32_e64 v0, 0, 1, vcc_lo
	v_cmp_gt_i32_e32 vcc_lo, 31, v35
	v_lshl_or_b32 v0, v0, 9, 0x7c00
	v_cndmask_b32_e32 v38, 0x7c00, v18, vcc_lo
	s_or_b32 vcc_lo, s2, s1
	v_cvt_f32_f16_e32 v18, v19
	v_add_co_ci_u32_e32 v16, vcc_lo, 0, v16, vcc_lo
	v_cmp_ne_u32_e32 vcc_lo, 0, v24
	v_cmp_ne_u32_e64 s1, 0, v11
	v_cvt_f64_f32_e32 v[23:24], v18
	v_mul_f64 v[18:19], v[4:5], s[6:7]
	v_lshrrev_b32_e32 v5, 16, v15
	v_cndmask_b32_e64 v39, 0, 1, vcc_lo
	v_cmp_gt_i32_e32 vcc_lo, 31, v37
	v_sub_nc_u32_e32 v15, 0x3f1, v20
	v_lshl_or_b32 v4, v39, 9, 0x7c00
	v_cndmask_b32_e32 v16, 0x7c00, v16, vcc_lo
	v_cmp_eq_u32_e32 vcc_lo, 0x40f, v35
	v_med3_i32 v35, v15, 0, 13
	v_cndmask_b32_e32 v0, v38, v0, vcc_lo
	v_cmp_eq_u32_e32 vcc_lo, 0x40f, v37
	v_and_or_b32 v0, 0x8000, v5, v0
	v_cndmask_b32_e32 v4, v16, v4, vcc_lo
	v_lshrrev_b32_e32 v16, 16, v22
	v_and_or_b32 v18, 0x1ff, v19, v18
	v_lshl_or_b32 v22, v36, 16, v41
	v_and_b32_e32 v0, 0xffff, v0
	v_or_b32_e32 v36, 0x1000, v25
	v_and_or_b32 v37, 0x8000, v16, v4
	v_mul_f64 v[15:16], v[23:24], s[6:7]
	v_add_co_u32 v4, vcc_lo, v30, s5
	v_add_co_ci_u32_e32 v5, vcc_lo, s4, v31, vcc_lo
	v_lshl_or_b32 v0, v37, 16, v0
	v_cmp_ne_u32_e32 vcc_lo, 0, v18
	global_store_dword v[30:31], v22, off
	v_lshrrev_b32_e32 v18, 8, v19
	v_bfe_u32 v31, v19, 20, 11
	global_store_dword v[4:5], v0, off
	v_cndmask_b32_e64 v0, 0, 1, vcc_lo
	v_add_co_u32 v23, vcc_lo, v4, s5
	v_add_co_ci_u32_e32 v24, vcc_lo, s4, v5, vcc_lo
	v_and_or_b32 v18, 0xffe, v18, v0
	v_mul_f16_sdwa v0, v65, v8 dst_sel:DWORD dst_unused:UNUSED_PAD src0_sel:WORD_1 src1_sel:DWORD
	v_cmp_ne_u32_e32 vcc_lo, v33, v34
	v_add_nc_u32_e32 v33, 0xfffffc10, v21
	v_lshrrev_b32_e32 v38, v35, v36
	v_sub_nc_u32_e32 v22, 0x3f1, v31
	v_and_or_b32 v8, 0x1ff, v16, v15
	v_cndmask_b32_e64 v4, 0, 1, vcc_lo
	v_fma_f16 v15, v65, v32, -v0
	v_lshl_or_b32 v21, v33, 12, v11
	v_lshlrev_b32_e32 v30, v35, v38
	v_cmp_ne_u32_e32 vcc_lo, 0, v8
	v_or_b32_e32 v0, v43, v4
	ds_read2st64_b32 v[4:5], v50 offset0:40 offset1:42
	v_med3_i32 v35, v22, 0, 13
	v_lshrrev_b32_e32 v22, 8, v16
	v_cndmask_b32_e64 v8, 0, 1, vcc_lo
	v_cmp_gt_i32_e32 vcc_lo, 1, v33
	v_cvt_f32_f16_e32 v15, v15
	v_cndmask_b32_e64 v11, 0, 1, s1
	v_or_b32_e32 v34, 0x1000, v18
	v_add_nc_u32_e32 v31, 0xfffffc10, v31
	v_cndmask_b32_e32 v32, v21, v0, vcc_lo
	v_cmp_ne_u32_e32 vcc_lo, v29, v28
	v_add_nc_u32_e32 v28, 0xfffffc10, v26
	v_and_or_b32 v0, 0xffe, v22, v8
	v_lshl_or_b32 v11, v11, 9, 0x7c00
	v_and_b32_e32 v26, 7, v32
	v_cndmask_b32_e64 v21, 0, 1, vcc_lo
	v_lshl_or_b32 v22, v28, 12, v14
	v_cmp_gt_i32_e64 s0, 1, v28
	v_cmp_gt_i32_e64 s1, 1, v31
	v_cmp_lt_i32_e32 vcc_lo, 5, v26
	v_or_b32_e32 v21, v27, v21
	s_waitcnt lgkmcnt(0)
	v_lshrrev_b32_e32 v37, 16, v5
	v_bfe_u32 v8, v16, 20, 11
	v_lshrrev_b32_e32 v41, 16, v19
	v_lshrrev_b32_e32 v16, 16, v16
	v_cndmask_b32_e64 v29, v22, v21, s0
	v_cvt_f64_f32_e32 v[21:22], v15
	v_cmp_eq_u32_e64 s0, 3, v26
	v_lshrrev_b32_e32 v15, 2, v32
	v_mul_f16_sdwa v32, v66, v37 dst_sel:DWORD dst_unused:UNUSED_PAD src0_sel:WORD_1 src1_sel:DWORD
	v_and_b32_e32 v26, 7, v29
	v_sub_nc_u32_e32 v27, 0x3f1, v8
	s_or_b32 vcc_lo, s0, vcc_lo
	v_add_nc_u32_e32 v8, 0xfffffc10, v8
	v_fmac_f16_e32 v32, v66, v5
	v_add_co_ci_u32_e32 v39, vcc_lo, 0, v15, vcc_lo
	v_cmp_lt_i32_e32 vcc_lo, 5, v26
	v_cmp_eq_u32_e64 s0, 3, v26
	v_lshrrev_b32_e32 v15, 2, v29
	v_cvt_f32_f16_e32 v26, v32
	v_mul_f16_sdwa v5, v66, v5 dst_sel:DWORD dst_unused:UNUSED_PAD src0_sel:WORD_1 src1_sel:DWORD
	v_med3_i32 v27, v27, 0, 13
	s_or_b32 vcc_lo, s0, vcc_lo
	v_add_co_ci_u32_e32 v29, vcc_lo, 0, v15, vcc_lo
	v_cmp_ne_u32_e32 vcc_lo, 0, v14
	v_cvt_f64_f32_e32 v[14:15], v26
	v_mul_f64 v[21:22], v[21:22], s[6:7]
	v_fma_f16 v5, v66, v37, -v5
	v_cndmask_b32_e64 v32, 0, 1, vcc_lo
	v_cmp_gt_i32_e32 vcc_lo, 31, v33
	v_cvt_f32_f16_e32 v5, v5
	v_lshl_or_b32 v32, v32, 9, 0x7c00
	v_cndmask_b32_e32 v26, 0x7c00, v39, vcc_lo
	v_cmp_gt_i32_e32 vcc_lo, 31, v28
	v_cndmask_b32_e32 v29, 0x7c00, v29, vcc_lo
	v_cmp_eq_u32_e32 vcc_lo, 0x40f, v33
	v_mul_f64 v[14:15], v[14:15], s[6:7]
	v_cndmask_b32_e32 v11, v26, v11, vcc_lo
	v_cmp_eq_u32_e32 vcc_lo, 0x40f, v28
	v_and_or_b32 v21, 0x1ff, v22, v21
	v_bfe_u32 v37, v22, 20, 11
	v_or_b32_e32 v26, 0x1000, v0
	v_and_or_b32 v11, 0x8000, v12, v11
	v_cndmask_b32_e32 v28, v29, v32, vcc_lo
	v_lshrrev_b32_e32 v29, 16, v17
	v_cmp_ne_u32_e32 vcc_lo, 0, v21
	v_lshrrev_b32_e32 v32, v35, v34
	v_and_b32_e32 v11, 0xffff, v11
	v_lshrrev_b32_e32 v17, v27, v26
	v_and_or_b32 v12, 0x8000, v29, v28
	v_cndmask_b32_e64 v21, 0, 1, vcc_lo
	v_cmp_ne_u32_e32 vcc_lo, v30, v36
	v_add_nc_u32_e32 v36, 0xfffffc10, v20
	v_lshlrev_b32_e32 v28, v35, v32
	v_lshl_or_b32 v33, v12, 16, v11
	v_cvt_f64_f32_e32 v[11:12], v5
	v_cndmask_b32_e64 v5, 0, 1, vcc_lo
	v_add_co_u32 v29, vcc_lo, v23, s5
	v_add_co_ci_u32_e32 v30, vcc_lo, s4, v24, vcc_lo
	v_or_b32_e32 v5, v38, v5
	v_lshl_or_b32 v38, v36, 12, v25
	v_and_or_b32 v14, 0x1ff, v15, v14
	v_cmp_gt_i32_e32 vcc_lo, 1, v36
	v_sub_nc_u32_e32 v20, 0x3f1, v37
	v_lshrrev_b32_e32 v35, 8, v22
	v_lshlrev_b32_e32 v27, v27, v17
	global_store_dword v[23:24], v33, off
	v_cndmask_b32_e32 v5, v38, v5, vcc_lo
	v_cmp_ne_u32_e32 vcc_lo, 0, v14
	v_med3_i32 v39, v20, 0, 13
	v_lshrrev_b32_e32 v20, 8, v15
	v_and_or_b32 v35, 0xffe, v35, v21
	v_and_b32_e32 v40, 7, v5
	v_cndmask_b32_e64 v14, 0, 1, vcc_lo
	v_cmp_ne_u32_e32 vcc_lo, v28, v34
	v_lshrrev_b32_e32 v5, 2, v5
	v_bfe_u32 v34, v15, 20, 11
	v_cmp_eq_u32_e64 s0, 3, v40
	v_and_or_b32 v14, 0xffe, v20, v14
	v_cndmask_b32_e64 v28, 0, 1, vcc_lo
	v_cmp_lt_i32_e32 vcc_lo, 5, v40
	v_mul_f64 v[20:21], v[11:12], s[6:7]
	ds_read2st64_b32 v[11:12], v50 offset0:48 offset1:50
	v_or_b32_e32 v38, 0x1000, v35
	v_or_b32_e32 v28, v32, v28
	s_or_b32 vcc_lo, s0, vcc_lo
	v_lshl_or_b32 v32, v31, 12, v18
	v_add_co_ci_u32_e32 v5, vcc_lo, 0, v5, vcc_lo
	v_cmp_ne_u32_e32 vcc_lo, 0, v25
	v_cndmask_b32_e64 v28, v32, v28, s1
	v_cmp_eq_u32_e64 s1, 0x40f, v36
	v_cndmask_b32_e64 v25, 0, 1, vcc_lo
	v_cmp_gt_i32_e32 vcc_lo, 31, v36
	v_and_b32_e32 v32, 7, v28
	v_lshl_or_b32 v25, v25, 9, 0x7c00
	v_cndmask_b32_e32 v5, 0x7c00, v5, vcc_lo
	v_cmp_lt_i32_e32 vcc_lo, 5, v32
	v_cmp_eq_u32_e64 s0, 3, v32
	s_waitcnt lgkmcnt(0)
	v_lshrrev_b32_e32 v36, 16, v11
	v_and_or_b32 v20, 0x1ff, v21, v20
	v_cndmask_b32_e64 v5, v5, v25, s1
	v_lshrrev_b32_e32 v25, 2, v28
	s_or_b32 vcc_lo, s0, vcc_lo
	v_mul_f16_sdwa v28, v63, v36 dst_sel:DWORD dst_unused:UNUSED_PAD src0_sel:WORD_1 src1_sel:DWORD
	v_bfe_u32 v40, v21, 20, 11
	v_and_or_b32 v5, 0x8000, v6, v5
	v_add_co_ci_u32_e32 v25, vcc_lo, 0, v25, vcc_lo
	v_cmp_ne_u32_e32 vcc_lo, 0, v18
	v_fmac_f16_e32 v28, v63, v11
	v_and_b32_e32 v5, 0xffff, v5
	v_sub_nc_u32_e32 v32, 0x3f1, v34
	v_sub_nc_u32_e32 v6, 0x3f1, v40
	v_cndmask_b32_e64 v18, 0, 1, vcc_lo
	v_cmp_gt_i32_e32 vcc_lo, 31, v31
	v_cvt_f32_f16_e32 v28, v28
	v_mul_f16_sdwa v11, v63, v11 dst_sel:DWORD dst_unused:UNUSED_PAD src0_sel:WORD_1 src1_sel:DWORD
	v_lshl_or_b32 v18, v18, 9, 0x7c00
	v_cndmask_b32_e32 v25, 0x7c00, v25, vcc_lo
	v_cmp_ne_u32_e32 vcc_lo, 0, v20
	v_fma_f16 v11, v63, v36, -v11
	v_cndmask_b32_e64 v20, 0, 1, vcc_lo
	v_cmp_eq_u32_e32 vcc_lo, 0x40f, v31
	v_lshrrev_b32_e32 v31, 8, v21
	v_cvt_f32_f16_e32 v11, v11
	v_cndmask_b32_e32 v25, v25, v18, vcc_lo
	v_cvt_f64_f32_e32 v[18:19], v28
	v_and_or_b32 v28, 0xffe, v31, v20
	v_or_b32_e32 v31, 0x1000, v14
	v_cmp_ne_u32_e32 vcc_lo, v27, v26
	v_and_or_b32 v20, 0x8000, v41, v25
	v_med3_i32 v25, v32, 0, 13
	v_med3_i32 v32, v6, 0, 13
	v_add_nc_u32_e32 v27, 0xfffffc10, v37
	v_or_b32_e32 v41, 0x1000, v28
	v_lshl_or_b32 v5, v20, 16, v5
	v_lshrrev_b32_e32 v20, v39, v38
	v_lshrrev_b32_e32 v33, v25, v31
	;; [unrolled: 1-line block ×3, first 2 shown]
	global_store_dword v[29:30], v5, off
	ds_read2st64_b32 v[5:6], v50 offset0:52 offset1:54
	v_lshlrev_b32_e32 v23, v39, v20
	v_lshlrev_b32_e32 v39, v25, v33
	;; [unrolled: 1-line block ×3, first 2 shown]
	v_mul_f64 v[25:26], v[18:19], s[6:7]
	v_cndmask_b32_e64 v18, 0, 1, vcc_lo
	v_cmp_ne_u32_e32 vcc_lo, v23, v38
	v_or_b32_e32 v17, v17, v18
	v_cndmask_b32_e64 v19, 0, 1, vcc_lo
	v_lshl_or_b32 v18, v8, 12, v0
	v_cmp_gt_i32_e32 vcc_lo, 1, v8
	v_or_b32_e32 v19, v20, v19
	v_lshl_or_b32 v20, v27, 12, v35
	v_cndmask_b32_e32 v36, v18, v17, vcc_lo
	v_cmp_gt_i32_e32 vcc_lo, 1, v27
	s_waitcnt lgkmcnt(0)
	v_lshrrev_b32_e32 v37, 16, v6
	v_cvt_f64_f32_e32 v[17:18], v11
	v_cndmask_b32_e32 v38, v20, v19, vcc_lo
	v_and_b32_e32 v19, 7, v36
	v_add_co_u32 v23, vcc_lo, v29, s5
	v_mul_f16_sdwa v20, v64, v37 dst_sel:DWORD dst_unused:UNUSED_PAD src0_sel:WORD_1 src1_sel:DWORD
	v_add_co_ci_u32_e32 v24, vcc_lo, s4, v30, vcc_lo
	v_cmp_lt_i32_e32 vcc_lo, 5, v19
	v_cmp_eq_u32_e64 s0, 3, v19
	v_lshrrev_b32_e32 v19, 2, v36
	v_fmac_f16_e32 v20, v64, v6
	v_and_b32_e32 v11, 7, v38
	v_and_or_b32 v25, 0x1ff, v26, v25
	s_or_b32 vcc_lo, s0, vcc_lo
	v_cmp_gt_i32_e64 s0, 31, v8
	v_add_co_ci_u32_e32 v29, vcc_lo, 0, v19, vcc_lo
	v_cmp_ne_u32_e32 vcc_lo, 0, v0
	v_cvt_f32_f16_e32 v20, v20
	v_cmp_lt_i32_e64 s1, 5, v11
	v_mul_f16_sdwa v6, v64, v6 dst_sel:DWORD dst_unused:UNUSED_PAD src0_sel:WORD_1 src1_sel:DWORD
	v_mul_f64 v[17:18], v[17:18], s[6:7]
	v_cndmask_b32_e64 v0, 0, 1, vcc_lo
	v_cmp_eq_u32_e32 vcc_lo, 3, v11
	v_cndmask_b32_e64 v11, 0x7c00, v29, s0
	v_cmp_ne_u32_e64 s0, 0, v25
	v_cvt_f64_f32_e32 v[19:20], v20
	v_fma_f16 v6, v64, v37, -v6
	s_or_b32 vcc_lo, vcc_lo, s1
	v_lshl_or_b32 v0, v0, 9, 0x7c00
	v_cndmask_b32_e64 v25, 0, 1, s0
	v_cmp_eq_u32_e64 s0, 0x40f, v8
	v_lshrrev_b32_e32 v8, 2, v38
	v_cvt_f32_f16_e32 v6, v6
	v_bfe_u32 v36, v26, 20, 11
	v_cndmask_b32_e64 v0, v11, v0, s0
	v_add_co_ci_u32_e32 v8, vcc_lo, 0, v8, vcc_lo
	v_cmp_ne_u32_e32 vcc_lo, 0, v35
	v_lshrrev_b32_e32 v11, 8, v26
	v_and_or_b32 v0, 0x8000, v16, v0
	v_and_or_b32 v16, 0x1ff, v18, v17
	v_cndmask_b32_e64 v29, 0, 1, vcc_lo
	v_cmp_gt_i32_e32 vcc_lo, 31, v27
	v_and_b32_e32 v0, 0xffff, v0
	v_bfe_u32 v37, v18, 20, 11
	v_mul_f64 v[19:20], v[19:20], s[6:7]
	v_lshl_or_b32 v35, v29, 9, 0x7c00
	v_cvt_f64_f32_e32 v[29:30], v6
	v_cndmask_b32_e32 v8, 0x7c00, v8, vcc_lo
	v_cmp_eq_u32_e32 vcc_lo, 0x40f, v27
	v_cndmask_b32_e32 v6, v8, v35, vcc_lo
	v_lshrrev_b32_e32 v8, 16, v22
	v_cmp_ne_u32_e32 vcc_lo, 0, v16
	v_lshrrev_b32_e32 v16, 8, v18
	v_and_or_b32 v35, 0xffe, v11, v25
	v_sub_nc_u32_e32 v11, 0x3f1, v36
	v_and_or_b32 v6, 0x8000, v8, v6
	v_cndmask_b32_e64 v8, 0, 1, vcc_lo
	v_add_co_u32 v22, vcc_lo, v23, s5
	v_med3_i32 v38, v11, 0, 13
	v_lshl_or_b32 v0, v6, 16, v0
	v_and_or_b32 v6, 0xffe, v16, v8
	v_lshrrev_b32_e32 v11, 16, v13
	v_lshrrev_b32_e32 v25, 8, v20
	v_mul_f64 v[16:17], v[29:30], s[6:7]
	global_store_dword v[23:24], v0, off
	v_and_or_b32 v0, 0x1ff, v20, v19
	v_add_co_ci_u32_e32 v23, vcc_lo, s4, v24, vcc_lo
	v_add_nc_u32_e32 v29, 0xfffffc10, v34
	v_mul_f16_sdwa v19, v62, v11 dst_sel:DWORD dst_unused:UNUSED_PAD src0_sel:WORD_1 src1_sel:DWORD
	v_cmp_ne_u32_e32 vcc_lo, 0, v0
	v_sub_nc_u32_e32 v8, 0x3f1, v37
	v_or_b32_e32 v43, 0x1000, v35
	v_fmac_f16_e32 v19, v62, v13
	v_cndmask_b32_e64 v0, 0, 1, vcc_lo
	v_cmp_ne_u32_e32 vcc_lo, v39, v31
	v_lshl_or_b32 v31, v29, 12, v14
	v_mul_f16_sdwa v13, v62, v13 dst_sel:DWORD dst_unused:UNUSED_PAD src0_sel:WORD_1 src1_sel:DWORD
	v_cvt_f32_f16_e32 v19, v19
	v_med3_i32 v44, v8, 0, 13
	v_cndmask_b32_e64 v24, 0, 1, vcc_lo
	v_cmp_gt_i32_e32 vcc_lo, 1, v29
	v_fma_f16 v13, v62, v11, -v13
	v_and_or_b32 v11, 0xffe, v25, v0
	v_and_or_b32 v16, 0x1ff, v17, v16
	v_or_b32_e32 v24, v33, v24
	v_bfe_u32 v8, v20, 20, 11
	v_cvt_f32_f16_e32 v13, v13
	v_lshrrev_b32_e32 v30, v38, v43
	v_lshrrev_b32_e32 v20, 16, v20
	v_cndmask_b32_e32 v24, v31, v24, vcc_lo
	v_cmp_ne_u32_e32 vcc_lo, 0, v16
	v_sub_nc_u32_e32 v27, 0x3f1, v8
	v_lshrrev_b32_e32 v16, 8, v17
	v_add_nc_u32_e32 v8, 0xfffffc10, v8
	v_and_b32_e32 v25, 7, v24
	v_cndmask_b32_e64 v0, 0, 1, vcc_lo
	v_cmp_ne_u32_e32 vcc_lo, v32, v41
	v_add_nc_u32_e32 v32, 0xfffffc10, v40
	v_lshrrev_b32_e32 v24, 2, v24
	v_cmp_eq_u32_e64 s0, 3, v25
	v_med3_i32 v33, v27, 0, 13
	v_cndmask_b32_e64 v31, 0, 1, vcc_lo
	v_cmp_lt_i32_e32 vcc_lo, 5, v25
	v_lshl_or_b32 v34, v32, 12, v28
	v_cmp_gt_i32_e64 s1, 1, v32
	v_bfe_u32 v27, v17, 20, 11
	v_or_b32_e32 v31, v42, v31
	s_or_b32 vcc_lo, s0, vcc_lo
	v_and_or_b32 v0, 0xffe, v16, v0
	v_lshrrev_b32_e32 v41, 16, v15
	v_sub_nc_u32_e32 v16, 0x3f1, v27
	v_cndmask_b32_e64 v31, v34, v31, s1
	v_add_co_ci_u32_e32 v34, vcc_lo, 0, v24, vcc_lo
	v_cvt_f64_f32_e32 v[24:25], v19
	v_cmp_ne_u32_e32 vcc_lo, 0, v14
	v_and_b32_e32 v19, 7, v31
	v_cmp_eq_u32_e64 s1, 0x40f, v29
	v_med3_i32 v40, v16, 0, 13
	v_or_b32_e32 v42, 0x1000, v6
	v_cndmask_b32_e64 v14, 0, 1, vcc_lo
	v_cmp_gt_i32_e32 vcc_lo, 31, v29
	v_cmp_eq_u32_e64 s0, 3, v19
	v_lshrrev_b32_e32 v29, 2, v31
	v_add_nc_u32_e32 v27, 0xfffffc10, v27
	v_lshl_or_b32 v39, v14, 9, 0x7c00
	v_cndmask_b32_e32 v34, 0x7c00, v34, vcc_lo
	v_cmp_lt_i32_e32 vcc_lo, 5, v19
	v_cvt_f64_f32_e32 v[13:14], v13
	v_or_b32_e32 v19, 0x1000, v11
	v_cndmask_b32_e64 v34, v34, v39, s1
	s_or_b32 vcc_lo, s0, vcc_lo
	v_or_b32_e32 v39, 0x1000, v0
	v_add_co_ci_u32_e32 v16, vcc_lo, 0, v29, vcc_lo
	v_cmp_ne_u32_e32 vcc_lo, 0, v28
	v_mul_f64 v[24:25], v[24:25], s[6:7]
	v_lshrrev_b32_e32 v31, v33, v19
	v_and_or_b32 v34, 0x8000, v41, v34
	v_lshrrev_b32_e32 v29, v40, v39
	v_cndmask_b32_e64 v28, 0, 1, vcc_lo
	v_cmp_gt_i32_e32 vcc_lo, 31, v32
	v_mul_f16_sdwa v41, v59, v7 dst_sel:DWORD dst_unused:UNUSED_PAD src0_sel:WORD_1 src1_sel:DWORD
	v_lshl_or_b32 v28, v28, 9, 0x7c00
	v_cndmask_b32_e32 v16, 0x7c00, v16, vcc_lo
	v_cmp_eq_u32_e32 vcc_lo, 0x40f, v32
	v_lshlrev_b32_e32 v32, v40, v29
	v_cndmask_b32_e32 v28, v16, v28, vcc_lo
	v_mul_f64 v[15:16], v[13:14], s[6:7]
	v_lshlrev_b32_e32 v14, v33, v31
	v_lshlrev_b32_e32 v33, v38, v30
	v_lshrrev_b32_e32 v13, 16, v21
	v_lshrrev_b32_e32 v21, v44, v42
	v_cmp_ne_u32_e32 vcc_lo, v32, v39
	v_cmp_ne_u32_e64 s0, v14, v19
	v_and_or_b32 v19, 0x1ff, v25, v24
	v_cmp_ne_u32_e64 s1, v33, v43
	v_and_or_b32 v13, 0x8000, v13, v28
	v_and_b32_e32 v14, 0xffff, v34
	v_add_nc_u32_e32 v33, 0xfffffc10, v36
	v_lshlrev_b32_e32 v38, v44, v21
	v_cndmask_b32_e64 v24, 0, 1, s1
	v_cmp_ne_u32_e64 s1, 0, v19
	v_lshl_or_b32 v13, v13, 16, v14
	v_lshrrev_b32_e32 v28, 8, v25
	v_cmp_ne_u32_e64 s2, v38, v42
	v_or_b32_e32 v19, v30, v24
	v_cndmask_b32_e64 v14, 0, 1, s1
	v_lshl_or_b32 v24, v33, 12, v35
	v_cmp_gt_i32_e64 s1, 1, v33
	v_and_or_b32 v15, 0x1ff, v16, v15
	v_bfe_u32 v30, v25, 20, 11
	v_lshrrev_b32_e32 v32, 8, v16
	global_store_dword v[22:23], v13, off
	v_cndmask_b32_e64 v19, v24, v19, s1
	v_cmp_ne_u32_e64 s1, 0, v15
	v_sub_nc_u32_e32 v24, 0x3f1, v30
	v_cndmask_b32_e64 v13, 0, 1, s2
	v_and_or_b32 v28, 0xffe, v28, v14
	v_and_b32_e32 v34, 7, v19
	v_cndmask_b32_e64 v15, 0, 1, s1
	v_lshrrev_b32_e32 v19, 2, v19
	v_med3_i32 v43, v24, 0, 13
	v_add_nc_u32_e32 v36, 0xfffffc10, v37
	v_cmp_lt_i32_e64 s1, 5, v34
	v_cmp_eq_u32_e64 s2, 3, v34
	v_and_or_b32 v24, 0xffe, v32, v15
	ds_read2st64_b32 v[14:15], v50 offset0:8 offset1:10
	v_or_b32_e32 v13, v21, v13
	v_lshl_or_b32 v21, v36, 12, v6
	s_or_b32 s1, s2, s1
	v_bfe_u32 v32, v16, 20, 11
	v_add_co_ci_u32_e64 v19, s1, 0, v19, s1
	v_cmp_ne_u32_e64 s1, 0, v35
	v_or_b32_e32 v46, 0x1000, v24
	v_sub_nc_u32_e32 v35, 0x3f1, v32
	v_add_nc_u32_e32 v30, 0xfffffc10, v30
	v_cndmask_b32_e64 v34, 0, 1, s1
	v_cmp_gt_i32_e64 s1, 1, v36
	v_med3_i32 v44, v35, 0, 13
	v_cndmask_b32_e64 v13, v21, v13, s1
	v_cmp_gt_i32_e64 s1, 31, v33
	v_lshl_or_b32 v21, v34, 9, 0x7c00
	s_waitcnt lgkmcnt(0)
	v_lshrrev_b32_e32 v37, 16, v14
	v_lshrrev_b32_e32 v48, v44, v46
	v_and_b32_e32 v34, 7, v13
	v_cndmask_b32_e64 v19, 0x7c00, v19, s1
	v_cmp_eq_u32_e64 s1, 0x40f, v33
	v_mul_f16_sdwa v33, v61, v37 dst_sel:DWORD dst_unused:UNUSED_PAD src0_sel:WORD_1 src1_sel:DWORD
	v_cmp_eq_u32_e64 s2, 3, v34
	v_cndmask_b32_e64 v19, v19, v21, s1
	v_lshrrev_b32_e32 v21, 16, v26
	v_mul_f16_sdwa v26, v61, v14 dst_sel:DWORD dst_unused:UNUSED_PAD src0_sel:WORD_1 src1_sel:DWORD
	v_cmp_lt_i32_e64 s1, 5, v34
	v_lshrrev_b32_e32 v34, 2, v13
	v_fmac_f16_e32 v33, v61, v14
	ds_read2st64_b32 v[13:14], v50 offset0:20 offset1:22
	v_fma_f16 v26, v61, v37, -v26
	v_lshrrev_b32_e32 v37, 16, v7
	s_or_b32 s1, s2, s1
	v_cvt_f32_f16_e32 v33, v33
	v_add_co_ci_u32_e64 v38, s1, 0, v34, s1
	v_mul_f16_sdwa v39, v59, v37 dst_sel:DWORD dst_unused:UNUSED_PAD src0_sel:WORD_1 src1_sel:DWORD
	v_cmp_ne_u32_e64 s1, 0, v6
	v_cvt_f32_f16_e32 v26, v26
	v_cvt_f64_f32_e32 v[33:34], v33
	v_fma_f16 v37, v59, v37, -v41
	v_fmac_f16_e32 v39, v59, v7
	v_cndmask_b32_e64 v40, 0, 1, s1
	v_cmp_gt_i32_e64 s1, 31, v36
	v_cvt_f64_f32_e32 v[6:7], v26
	v_cvt_f32_f16_e32 v37, v37
	v_cvt_f32_f16_e32 v39, v39
	v_and_or_b32 v21, 0x8000, v21, v19
	v_cndmask_b32_e64 v35, 0x7c00, v38, s1
	v_lshl_or_b32 v38, v40, 9, 0x7c00
	v_cmp_eq_u32_e64 s1, 0x40f, v36
	s_waitcnt lgkmcnt(0)
	v_lshrrev_b32_e32 v45, 16, v13
	v_lshrrev_b32_e32 v40, 16, v18
	v_cvt_f64_f32_e32 v[18:19], v37
	v_and_b32_e32 v21, 0xffff, v21
	v_cndmask_b32_e64 v38, v35, v38, s1
	v_cvt_f64_f32_e32 v[35:36], v39
	v_mul_f16_sdwa v39, v60, v45 dst_sel:DWORD dst_unused:UNUSED_PAD src0_sel:WORD_1 src1_sel:DWORD
	v_or_b32_e32 v26, 0x1000, v28
	v_and_or_b32 v41, 0x8000, v40, v38
	v_mul_f64 v[33:34], v[33:34], s[6:7]
	v_fmac_f16_e32 v39, v60, v13
	v_mul_f16_sdwa v13, v60, v13 dst_sel:DWORD dst_unused:UNUSED_PAD src0_sel:WORD_1 src1_sel:DWORD
	v_lshl_or_b32 v47, v41, 16, v21
	v_mul_f64 v[37:38], v[6:7], s[6:7]
	v_cvt_f32_f16_e32 v6, v39
	v_add_co_u32 v39, s1, v22, s5
	v_add_co_ci_u32_e64 v40, s1, s4, v23, s1
	v_cvt_f64_f32_e32 v[41:42], v6
	v_lshrrev_b32_e32 v23, v43, v26
	v_fma_f16 v13, v60, v45, -v13
	v_mul_f64 v[6:7], v[18:19], s[6:7]
	global_store_dword v[39:40], v47, off
	v_mul_f64 v[21:22], v[35:36], s[6:7]
	v_lshlrev_b32_e32 v35, v44, v48
	v_lshlrev_b32_e32 v43, v43, v23
	v_cvt_f32_f16_e32 v13, v13
	v_and_or_b32 v18, 0x1ff, v34, v33
	v_cmp_ne_u32_e64 s2, v35, v46
	v_add_co_u32 v35, s3, v39, s5
	v_add_co_ci_u32_e64 v36, s3, s4, v40, s3
	v_cmp_ne_u32_e64 s1, v43, v26
	v_and_or_b32 v26, 0x1ff, v38, v37
	v_cmp_ne_u32_e64 s3, 0, v18
	v_lshrrev_b32_e32 v39, 8, v38
	v_lshrrev_b32_e32 v37, 8, v34
	v_mul_f64 v[18:19], v[41:42], s[6:7]
	v_cndmask_b32_e64 v33, 0, 1, s3
	v_cmp_ne_u32_e64 s3, 0, v26
	v_and_or_b32 v6, 0x1ff, v7, v6
	v_bfe_u32 v44, v7, 20, 11
	v_and_or_b32 v21, 0x1ff, v22, v21
	v_and_or_b32 v33, 0xffe, v37, v33
	v_cndmask_b32_e64 v26, 0, 1, s3
	v_lshrrev_b32_e32 v37, 8, v22
	v_bfe_u32 v42, v22, 20, 11
	v_cmp_ne_u32_e64 s3, 0, v21
	v_or_b32_e32 v40, 0x1000, v33
	v_and_or_b32 v26, 0xffe, v39, v26
	v_lshrrev_b32_e32 v39, 8, v7
	v_lshrrev_b32_e32 v7, 16, v7
	v_cndmask_b32_e64 v21, 0, 1, s3
	v_cmp_ne_u32_e64 s3, 0, v6
	v_and_or_b32 v37, 0xffe, v37, v21
	v_cndmask_b32_e64 v6, 0, 1, s3
	v_cndmask_b32_e64 v21, 0, 1, s0
	v_and_or_b32 v39, 0xffe, v39, v6
	v_and_or_b32 v6, 0x1ff, v19, v18
	v_or_b32_e32 v18, v31, v21
	v_lshl_or_b32 v21, v8, 12, v11
	v_cndmask_b32_e64 v31, 0, 1, s1
	v_cmp_gt_i32_e64 s1, 1, v30
	v_cmp_ne_u32_e64 s0, 0, v6
	v_cndmask_b32_e64 v6, 0, 1, s0
	v_cmp_gt_i32_e64 s0, 1, v8
	v_cndmask_b32_e64 v18, v21, v18, s0
	v_lshrrev_b32_e32 v21, 8, v19
	v_and_or_b32 v6, 0xffe, v21, v6
	v_and_b32_e32 v21, 7, v18
	v_lshrrev_b32_e32 v18, 2, v18
	v_cmp_lt_i32_e64 s0, 5, v21
	v_cmp_eq_u32_e64 s3, 3, v21
	v_cndmask_b32_e64 v21, 0, 1, vcc_lo
	s_or_b32 vcc_lo, s3, s0
	v_or_b32_e32 v21, v29, v21
	v_add_co_ci_u32_e32 v18, vcc_lo, 0, v18, vcc_lo
	v_cmp_ne_u32_e32 vcc_lo, 0, v11
	v_lshl_or_b32 v29, v27, 12, v0
	v_cndmask_b32_e64 v11, 0, 1, vcc_lo
	v_cmp_gt_i32_e32 vcc_lo, 1, v27
	v_lshl_or_b32 v11, v11, 9, 0x7c00
	v_cndmask_b32_e32 v21, v29, v21, vcc_lo
	v_cmp_gt_i32_e32 vcc_lo, 31, v8
	v_bfe_u32 v29, v34, 20, 11
	v_cndmask_b32_e32 v18, 0x7c00, v18, vcc_lo
	v_cmp_eq_u32_e32 vcc_lo, 0x40f, v8
	v_sub_nc_u32_e32 v8, 0x3f1, v29
	v_add_nc_u32_e32 v29, 0xfffffc10, v29
	v_cndmask_b32_e32 v11, v18, v11, vcc_lo
	v_and_b32_e32 v18, 7, v21
	v_med3_i32 v8, v8, 0, 13
	v_and_or_b32 v11, 0x8000, v20, v11
	v_cmp_lt_i32_e32 vcc_lo, 5, v18
	v_cmp_eq_u32_e64 s0, 3, v18
	v_lshrrev_b32_e32 v20, 2, v21
	v_or_b32_e32 v18, v23, v31
	v_lshl_or_b32 v23, v30, 12, v28
	v_cndmask_b32_e64 v21, 0, 1, s2
	s_or_b32 vcc_lo, s0, vcc_lo
	v_and_b32_e32 v11, 0xffff, v11
	v_add_co_ci_u32_e32 v20, vcc_lo, 0, v20, vcc_lo
	v_cmp_ne_u32_e32 vcc_lo, 0, v0
	v_cndmask_b32_e64 v18, v23, v18, s1
	v_add_nc_u32_e32 v23, 0xfffffc10, v32
	v_or_b32_e32 v21, v48, v21
	v_lshrrev_b32_e32 v41, v8, v40
	v_cndmask_b32_e64 v0, 0, 1, vcc_lo
	v_cmp_gt_i32_e32 vcc_lo, 31, v27
	v_lshl_or_b32 v32, v23, 12, v24
	v_bfe_u32 v31, v38, 20, 11
	v_lshlrev_b32_e32 v8, v8, v41
	v_lshl_or_b32 v0, v0, 9, 0x7c00
	v_cndmask_b32_e32 v20, 0x7c00, v20, vcc_lo
	v_cmp_gt_i32_e32 vcc_lo, 1, v23
	v_cndmask_b32_e32 v21, v32, v21, vcc_lo
	v_and_b32_e32 v32, 7, v18
	v_cmp_eq_u32_e32 vcc_lo, 0x40f, v27
	v_sub_nc_u32_e32 v27, 0x3f1, v31
	v_add_nc_u32_e32 v31, 0xfffffc10, v31
	v_cmp_eq_u32_e64 s0, 3, v32
	v_cndmask_b32_e32 v0, v20, v0, vcc_lo
	v_cmp_lt_i32_e32 vcc_lo, 5, v32
	v_lshrrev_b32_e32 v32, 16, v17
	v_lshrrev_b32_e32 v17, 2, v18
	v_and_b32_e32 v20, 7, v21
	v_lshrrev_b32_e32 v21, 2, v21
	s_or_b32 vcc_lo, s0, vcc_lo
	v_cmp_gt_i32_e64 s0, 31, v30
	v_add_co_ci_u32_e32 v17, vcc_lo, 0, v17, vcc_lo
	v_cmp_ne_u32_e32 vcc_lo, 0, v28
	v_cmp_lt_i32_e64 s1, 5, v20
	v_and_or_b32 v0, 0x8000, v32, v0
	v_cndmask_b32_e64 v17, 0x7c00, v17, s0
	v_cmp_eq_u32_e64 s0, 0x40f, v30
	v_cndmask_b32_e64 v18, 0, 1, vcc_lo
	v_cmp_eq_u32_e32 vcc_lo, 3, v20
	v_sub_nc_u32_e32 v20, 0x3f1, v42
	v_lshl_or_b32 v0, v0, 16, v11
	v_med3_i32 v27, v27, 0, 13
	v_lshl_or_b32 v18, v18, 9, 0x7c00
	s_or_b32 vcc_lo, vcc_lo, s1
	v_med3_i32 v20, v20, 0, 13
	global_store_dword v[35:36], v0, off
	v_or_b32_e32 v28, 0x1000, v26
	v_cndmask_b32_e64 v30, v17, v18, s0
	v_add_co_ci_u32_e32 v17, vcc_lo, 0, v21, vcc_lo
	v_cmp_ne_u32_e32 vcc_lo, 0, v24
	v_lshrrev_b32_e32 v21, 16, v25
	v_or_b32_e32 v24, 0x1000, v37
	s_mul_i32 s0, s9, 0xffffcc00
	v_lshrrev_b32_e32 v25, v27, v28
	v_cndmask_b32_e64 v18, 0, 1, vcc_lo
	v_cmp_gt_i32_e32 vcc_lo, 31, v23
	v_and_or_b32 v30, 0x8000, v21, v30
	s_sub_i32 s2, s0, s8
	v_lshlrev_b32_e32 v27, v27, v25
	v_lshl_or_b32 v18, v18, 9, 0x7c00
	v_cndmask_b32_e32 v17, 0x7c00, v17, vcc_lo
	v_cmp_eq_u32_e32 vcc_lo, 0x40f, v23
	v_lshrrev_b32_e32 v23, v20, v24
	v_cmp_gt_i32_e64 s1, 1, v31
	v_cndmask_b32_e32 v43, v17, v18, vcc_lo
	v_cvt_f64_f32_e32 v[17:18], v13
	v_lshrrev_b32_e32 v13, 16, v16
	v_sub_nc_u32_e32 v16, 0x3f1, v44
	v_lshlrev_b32_e32 v45, v20, v23
	v_mad_u64_u32 v[20:21], null, 0xffffcc00, s8, v[35:36]
	v_and_or_b32 v13, 0x8000, v13, v43
	v_med3_i32 v32, v16, 0, 13
	v_and_b32_e32 v16, 0xffff, v30
	v_bfe_u32 v30, v19, 20, 11
	v_or_b32_e32 v35, 0x1000, v6
	v_add_nc_u32_e32 v21, s2, v21
	v_lshl_or_b32 v11, v13, 16, v16
	v_lshrrev_b32_e32 v13, 16, v10
	v_sub_nc_u32_e32 v0, 0x3f1, v30
	v_add_nc_u32_e32 v30, 0xfffffc10, v30
	global_store_dword v[20:21], v11, off
	v_add_co_u32 v20, vcc_lo, v20, s5
	v_add_co_ci_u32_e32 v21, vcc_lo, s4, v21, vcc_lo
	v_mul_f64 v[16:17], v[17:18], s[6:7]
	v_mul_f16_sdwa v11, v58, v13 dst_sel:DWORD dst_unused:UNUSED_PAD src0_sel:WORD_1 src1_sel:DWORD
	v_cmp_ne_u32_e32 vcc_lo, v8, v40
	v_or_b32_e32 v18, 0x1000, v39
	v_med3_i32 v0, v0, 0, 13
	v_fmac_f16_e32 v11, v58, v10
	v_mul_f16_sdwa v10, v58, v10 dst_sel:DWORD dst_unused:UNUSED_PAD src0_sel:WORD_1 src1_sel:DWORD
	v_cndmask_b32_e64 v8, 0, 1, vcc_lo
	v_cmp_gt_i32_e32 vcc_lo, 1, v29
	v_lshrrev_b32_e32 v36, v32, v18
	v_cvt_f32_f16_e32 v11, v11
	v_fma_f16 v13, v58, v13, -v10
	v_or_b32_e32 v8, v41, v8
	v_lshl_or_b32 v10, v29, 12, v33
	v_lshlrev_b32_e32 v32, v32, v36
	v_lshrrev_b32_e32 v40, v0, v35
	v_cvt_f32_f16_e32 v13, v13
	v_cndmask_b32_e32 v8, v10, v8, vcc_lo
	v_lshlrev_b32_e32 v0, v0, v40
	v_and_or_b32 v16, 0x1ff, v17, v16
	v_bfe_u32 v41, v17, 20, 11
	v_cmp_ne_u32_e32 vcc_lo, 0, v16
	v_lshrrev_b32_e32 v16, 8, v17
	v_cndmask_b32_e64 v10, 0, 1, vcc_lo
	v_cmp_ne_u32_e32 vcc_lo, v27, v28
	v_and_b32_e32 v27, 7, v8
	v_lshrrev_b32_e32 v8, 2, v8
	v_and_or_b32 v16, 0xffe, v16, v10
	v_cndmask_b32_e64 v28, 0, 1, vcc_lo
	v_cmp_lt_i32_e32 vcc_lo, 5, v27
	v_cmp_eq_u32_e64 s0, 3, v27
	v_sub_nc_u32_e32 v10, 0x3f1, v41
	v_or_b32_e32 v25, v25, v28
	v_lshl_or_b32 v28, v31, 12, v26
	s_or_b32 vcc_lo, s0, vcc_lo
	v_med3_i32 v27, v10, 0, 13
	v_add_co_ci_u32_e32 v8, vcc_lo, 0, v8, vcc_lo
	v_cndmask_b32_e64 v10, v28, v25, s1
	v_cmp_ne_u32_e32 vcc_lo, 0, v33
	v_cmp_eq_u32_e64 s1, 0x40f, v29
	v_or_b32_e32 v33, 0x1000, v16
	v_and_b32_e32 v28, 7, v10
	v_cndmask_b32_e64 v25, 0, 1, vcc_lo
	v_cmp_gt_i32_e32 vcc_lo, 31, v29
	v_lshrrev_b32_e32 v10, 2, v10
	v_lshrrev_b32_e32 v29, 16, v34
	v_cmp_eq_u32_e64 s0, 3, v28
	v_lshl_or_b32 v25, v25, 9, 0x7c00
	v_cndmask_b32_e32 v8, 0x7c00, v8, vcc_lo
	v_cmp_lt_i32_e32 vcc_lo, 5, v28
	v_lshrrev_b32_e32 v28, v27, v33
	v_cndmask_b32_e64 v8, v8, v25, s1
	s_or_b32 vcc_lo, s0, vcc_lo
	v_add_co_ci_u32_e32 v10, vcc_lo, 0, v10, vcc_lo
	v_cmp_ne_u32_e32 vcc_lo, 0, v26
	v_add_nc_u32_e32 v26, 0xfffffc10, v42
	v_and_or_b32 v8, 0x8000, v29, v8
	v_cndmask_b32_e64 v25, 0, 1, vcc_lo
	v_cmp_ne_u32_e32 vcc_lo, v45, v24
	v_and_b32_e32 v8, 0xffff, v8
	v_lshl_or_b32 v25, v25, 9, 0x7c00
	v_cndmask_b32_e64 v24, 0, 1, vcc_lo
	v_cmp_gt_i32_e32 vcc_lo, 31, v31
	v_or_b32_e32 v23, v23, v24
	v_cndmask_b32_e32 v10, 0x7c00, v10, vcc_lo
	v_cmp_eq_u32_e32 vcc_lo, 0x40f, v31
	v_lshl_or_b32 v24, v26, 12, v37
	v_cndmask_b32_e32 v10, v10, v25, vcc_lo
	v_cmp_gt_i32_e32 vcc_lo, 1, v26
	v_add_nc_u32_e32 v25, 0xfffffc10, v44
	v_cndmask_b32_e32 v23, v24, v23, vcc_lo
	v_cmp_ne_u32_e32 vcc_lo, v32, v18
	v_lshrrev_b32_e32 v24, 16, v38
	v_cmp_gt_i32_e64 s1, 1, v25
	v_and_b32_e32 v31, 7, v23
	v_cndmask_b32_e64 v18, 0, 1, vcc_lo
	v_and_or_b32 v29, 0x8000, v24, v10
	v_lshrrev_b32_e32 v23, 2, v23
	v_cmp_lt_i32_e32 vcc_lo, 5, v31
	v_cmp_eq_u32_e64 s0, 3, v31
	v_or_b32_e32 v10, v36, v18
	v_lshl_or_b32 v18, v25, 12, v39
	s_or_b32 vcc_lo, s0, vcc_lo
	v_cndmask_b32_e64 v18, v18, v10, s1
	v_add_co_ci_u32_e32 v10, vcc_lo, 0, v23, vcc_lo
	v_cmp_ne_u32_e32 vcc_lo, 0, v37
	v_cmp_eq_u32_e64 s1, 0x40f, v26
	v_and_b32_e32 v24, 7, v18
	v_lshrrev_b32_e32 v18, 2, v18
	v_cndmask_b32_e64 v23, 0, 1, vcc_lo
	v_cmp_gt_i32_e32 vcc_lo, 31, v26
	v_cmp_eq_u32_e64 s0, 3, v24
	v_lshl_or_b32 v23, v23, 9, 0x7c00
	v_cndmask_b32_e32 v31, 0x7c00, v10, vcc_lo
	v_cvt_f64_f32_e32 v[10:11], v11
	v_cmp_lt_i32_e32 vcc_lo, 5, v24
	v_lshl_or_b32 v24, v30, 12, v6
	v_cndmask_b32_e64 v26, v31, v23, s1
	v_cmp_ne_u32_e64 s1, v0, v35
	s_or_b32 vcc_lo, s0, vcc_lo
	v_add_co_ci_u32_e32 v18, vcc_lo, 0, v18, vcc_lo
	v_cmp_ne_u32_e32 vcc_lo, 0, v39
	v_cndmask_b32_e64 v0, 0, 1, s1
	v_cndmask_b32_e64 v23, 0, 1, vcc_lo
	v_cmp_gt_i32_e32 vcc_lo, 31, v25
	v_or_b32_e32 v0, v40, v0
	v_lshl_or_b32 v31, v23, 9, 0x7c00
	v_cndmask_b32_e32 v18, 0x7c00, v18, vcc_lo
	v_cmp_gt_i32_e32 vcc_lo, 1, v30
	v_mul_f64 v[10:11], v[10:11], s[6:7]
	v_cndmask_b32_e32 v0, v24, v0, vcc_lo
	v_cvt_f64_f32_e32 v[23:24], v13
	v_lshrrev_b32_e32 v13, 16, v22
	v_cmp_eq_u32_e32 vcc_lo, 0x40f, v25
	v_lshlrev_b32_e32 v25, v27, v28
	v_and_b32_e32 v22, 7, v0
	v_lshrrev_b32_e32 v0, 2, v0
	v_and_or_b32 v13, 0x8000, v13, v26
	v_cndmask_b32_e32 v18, v18, v31, vcc_lo
	v_lshl_or_b32 v26, v29, 16, v8
	v_cmp_lt_i32_e32 vcc_lo, 5, v22
	v_cmp_eq_u32_e64 s0, 3, v22
	v_and_b32_e32 v8, 0xffff, v13
	v_and_or_b32 v7, 0x8000, v7, v18
	v_cmp_ne_u32_e64 s1, v25, v33
	v_add_nc_u32_e32 v25, 0xfffffc10, v41
	s_or_b32 vcc_lo, s0, vcc_lo
	global_store_dword v[20:21], v26, off
	v_add_co_ci_u32_e32 v0, vcc_lo, 0, v0, vcc_lo
	v_and_or_b32 v10, 0x1ff, v11, v10
	v_cmp_ne_u32_e32 vcc_lo, 0, v6
	v_cndmask_b32_e64 v13, 0, 1, s1
	v_mul_f64 v[22:23], v[23:24], s[6:7]
	v_lshl_or_b32 v24, v7, 16, v8
	ds_read2st64_b32 v[7:8], v50 offset0:32 offset1:34
	v_cndmask_b32_e64 v6, 0, 1, vcc_lo
	v_cmp_ne_u32_e32 vcc_lo, 0, v10
	v_or_b32_e32 v13, v28, v13
	v_lshl_or_b32 v28, v25, 12, v16
	v_lshrrev_b32_e32 v18, 8, v11
	v_lshl_or_b32 v6, v6, 9, 0x7c00
	v_cndmask_b32_e64 v10, 0, 1, vcc_lo
	v_cmp_gt_i32_e32 vcc_lo, 31, v30
	v_bfe_u32 v27, v11, 20, 11
	v_lshrrev_b32_e32 v11, 16, v11
	v_and_or_b32 v10, 0xffe, v18, v10
	v_cndmask_b32_e32 v0, 0x7c00, v0, vcc_lo
	v_cmp_gt_i32_e32 vcc_lo, 1, v25
	v_sub_nc_u32_e32 v18, 0x3f1, v27
	v_add_nc_u32_e32 v27, 0xfffffc10, v27
	v_cndmask_b32_e32 v13, v28, v13, vcc_lo
	v_cmp_eq_u32_e32 vcc_lo, 0x40f, v30
	s_waitcnt lgkmcnt(0)
	v_lshrrev_b32_e32 v30, 16, v7
	v_med3_i32 v29, v18, 0, 13
	v_or_b32_e32 v28, 0x1000, v10
	v_lshrrev_b32_e32 v31, 8, v23
	v_cndmask_b32_e32 v0, v0, v6, vcc_lo
	v_and_or_b32 v6, 0x1ff, v23, v22
	v_mul_f16_sdwa v33, v57, v30 dst_sel:DWORD dst_unused:UNUSED_PAD src0_sel:WORD_1 src1_sel:DWORD
	v_lshrrev_b32_e32 v22, 16, v19
	v_lshrrev_b32_e32 v26, v29, v28
	v_bfe_u32 v32, v23, 20, 11
	v_cmp_ne_u32_e32 vcc_lo, 0, v6
	v_fmac_f16_e32 v33, v57, v7
	v_mul_f16_sdwa v7, v57, v7 dst_sel:DWORD dst_unused:UNUSED_PAD src0_sel:WORD_1 src1_sel:DWORD
	v_lshlrev_b32_e32 v29, v29, v26
	v_and_or_b32 v0, 0x8000, v22, v0
	v_cndmask_b32_e64 v6, 0, 1, vcc_lo
	v_add_co_u32 v18, vcc_lo, v20, s5
	v_add_co_ci_u32_e32 v19, vcc_lo, s4, v21, vcc_lo
	v_cvt_f32_f16_e32 v20, v33
	v_cmp_ne_u32_e64 s1, v29, v28
	v_and_or_b32 v31, 0xffe, v31, v6
	global_store_dword v[18:19], v24, off
	v_and_b32_e32 v24, 7, v13
	v_add_co_u32 v18, vcc_lo, v18, s5
	v_add_co_ci_u32_e32 v19, vcc_lo, s4, v19, vcc_lo
	v_cmp_lt_i32_e32 vcc_lo, 5, v24
	v_cmp_eq_u32_e64 s0, 3, v24
	v_cvt_f64_f32_e32 v[20:21], v20
	v_lshrrev_b32_e32 v13, 2, v13
	v_cndmask_b32_e64 v28, 0, 1, s1
	v_sub_nc_u32_e32 v6, 0x3f1, v32
	s_or_b32 vcc_lo, s0, vcc_lo
	v_or_b32_e32 v34, 0x1000, v31
	v_add_co_ci_u32_e32 v13, vcc_lo, 0, v13, vcc_lo
	v_cmp_ne_u32_e32 vcc_lo, 0, v16
	v_or_b32_e32 v26, v26, v28
	v_lshl_or_b32 v28, v27, 12, v10
	v_med3_i32 v6, v6, 0, 13
	v_fma_f16 v7, v57, v30, -v7
	v_cndmask_b32_e64 v16, 0, 1, vcc_lo
	v_cmp_gt_i32_e32 vcc_lo, 31, v25
	v_add_nc_u32_e32 v22, 0xfffffc10, v32
	v_lshrrev_b32_e32 v24, v6, v34
	v_cvt_f32_f16_e32 v7, v7
	v_lshl_or_b32 v16, v16, 9, 0x7c00
	v_cndmask_b32_e32 v13, 0x7c00, v13, vcc_lo
	v_cmp_gt_i32_e32 vcc_lo, 1, v27
	v_lshlrev_b32_e32 v6, v6, v24
	v_mul_f64 v[20:21], v[20:21], s[6:7]
	v_and_b32_e32 v0, 0xffff, v0
	v_cndmask_b32_e32 v26, v28, v26, vcc_lo
	v_cmp_eq_u32_e32 vcc_lo, 0x40f, v25
	v_cmp_ne_u32_e64 s1, v6, v34
	v_cvt_f64_f32_e32 v[6:7], v7
	v_lshrrev_b32_e32 v28, 16, v9
	v_cndmask_b32_e32 v13, v13, v16, vcc_lo
	v_lshrrev_b32_e32 v16, 16, v17
	v_and_b32_e32 v17, 7, v26
	v_and_or_b32 v13, 0x8000, v16, v13
	v_cmp_lt_i32_e32 vcc_lo, 5, v17
	v_cmp_eq_u32_e64 s0, 3, v17
	v_lshrrev_b32_e32 v17, 2, v26
	v_cndmask_b32_e64 v16, 0, 1, s1
	v_lshl_or_b32 v0, v13, 16, v0
	s_or_b32 vcc_lo, s0, vcc_lo
	v_and_or_b32 v20, 0x1ff, v21, v20
	v_add_co_ci_u32_e32 v17, vcc_lo, 0, v17, vcc_lo
	v_cmp_ne_u32_e32 vcc_lo, 0, v10
	v_or_b32_e32 v16, v24, v16
	v_lshl_or_b32 v24, v22, 12, v31
	v_bfe_u32 v26, v21, 20, 11
	global_store_dword v[18:19], v0, off
	v_cndmask_b32_e64 v10, 0, 1, vcc_lo
	v_cmp_gt_i32_e32 vcc_lo, 31, v27
	v_lshl_or_b32 v10, v10, 9, 0x7c00
	v_cndmask_b32_e32 v25, 0x7c00, v17, vcc_lo
	v_cmp_ne_u32_e32 vcc_lo, 0, v20
	v_lshrrev_b32_e32 v20, 8, v21
	v_cndmask_b32_e64 v17, 0, 1, vcc_lo
	v_cmp_gt_i32_e32 vcc_lo, 1, v22
	v_and_or_b32 v20, 0xffe, v20, v17
	v_cndmask_b32_e32 v13, v24, v16, vcc_lo
	v_sub_nc_u32_e32 v24, 0x3f1, v26
	v_mul_f64 v[16:17], v[6:7], s[6:7]
	v_cmp_eq_u32_e32 vcc_lo, 0x40f, v27
	v_or_b32_e32 v29, 0x1000, v20
	v_and_b32_e32 v6, 7, v13
	v_med3_i32 v7, v24, 0, 13
	v_mul_f16_sdwa v24, v55, v28 dst_sel:DWORD dst_unused:UNUSED_PAD src0_sel:WORD_1 src1_sel:DWORD
	v_cndmask_b32_e32 v10, v25, v10, vcc_lo
	v_cmp_lt_i32_e32 vcc_lo, 5, v6
	v_cmp_eq_u32_e64 s0, 3, v6
	v_lshrrev_b32_e32 v25, v7, v29
	v_fmac_f16_e32 v24, v55, v9
	v_lshrrev_b32_e32 v6, 2, v13
	v_and_or_b32 v11, 0x8000, v11, v10
	s_or_b32 vcc_lo, s0, vcc_lo
	v_lshlrev_b32_e32 v13, v7, v25
	v_cvt_f32_f16_e32 v7, v24
	v_add_co_ci_u32_e32 v24, vcc_lo, 0, v6, vcc_lo
	v_cmp_ne_u32_e32 vcc_lo, 0, v31
	v_and_b32_e32 v11, 0xffff, v11
	v_cvt_f64_f32_e32 v[6:7], v7
	v_and_or_b32 v10, 0x1ff, v17, v16
	v_cndmask_b32_e64 v27, 0, 1, vcc_lo
	v_cmp_gt_i32_e32 vcc_lo, 31, v22
	v_cndmask_b32_e32 v16, 0x7c00, v24, vcc_lo
	v_cmp_ne_u32_e32 vcc_lo, v13, v29
	v_lshl_or_b32 v24, v27, 9, 0x7c00
	v_lshrrev_b32_e32 v27, 8, v17
	v_bfe_u32 v29, v17, 20, 11
	v_lshrrev_b32_e32 v17, 16, v17
	v_cndmask_b32_e64 v13, 0, 1, vcc_lo
	v_cmp_ne_u32_e32 vcc_lo, 0, v10
	v_or_b32_e32 v13, v25, v13
	v_cndmask_b32_e64 v10, 0, 1, vcc_lo
	v_cmp_eq_u32_e32 vcc_lo, 0x40f, v22
	v_mul_f16_sdwa v22, v55, v9 dst_sel:DWORD dst_unused:UNUSED_PAD src0_sel:WORD_1 src1_sel:DWORD
	v_cndmask_b32_e32 v16, v16, v24, vcc_lo
	v_add_nc_u32_e32 v24, 0xfffffc10, v26
	v_and_or_b32 v26, 0xffe, v27, v10
	v_sub_nc_u32_e32 v10, 0x3f1, v29
	v_fma_f16 v0, v55, v28, -v22
	v_lshl_or_b32 v25, v24, 12, v20
	v_cmp_gt_i32_e32 vcc_lo, 1, v24
	v_med3_i32 v30, v10, 0, 13
	v_mul_f64 v[9:10], v[6:7], s[6:7]
	v_cvt_f32_f16_e32 v0, v0
	v_or_b32_e32 v27, 0x1000, v26
	v_cndmask_b32_e32 v6, v25, v13, vcc_lo
	v_add_co_u32 v18, vcc_lo, v18, s5
	v_add_co_ci_u32_e32 v19, vcc_lo, s4, v19, vcc_lo
	v_and_b32_e32 v22, 7, v6
	v_lshrrev_b32_e32 v7, 16, v23
	v_lshrrev_b32_e32 v13, v30, v27
	v_cmp_lt_i32_e32 vcc_lo, 5, v22
	v_cmp_eq_u32_e64 s0, 3, v22
	v_cvt_f64_f32_e32 v[22:23], v0
	v_lshrrev_b32_e32 v0, 2, v6
	v_lshlrev_b32_e32 v25, v30, v13
	v_and_or_b32 v16, 0x8000, v7, v16
	s_or_b32 vcc_lo, s0, vcc_lo
	ds_read2st64_b32 v[6:7], v50 offset0:44 offset1:46
	v_add_co_ci_u32_e32 v0, vcc_lo, 0, v0, vcc_lo
	v_cmp_ne_u32_e32 vcc_lo, 0, v20
	v_cmp_ne_u32_e64 s1, v25, v27
	v_and_or_b32 v9, 0x1ff, v10, v9
	v_add_nc_u32_e32 v27, 0xfffffc10, v29
	v_lshl_or_b32 v11, v16, 16, v11
	v_cndmask_b32_e64 v20, 0, 1, vcc_lo
	v_cmp_gt_i32_e32 vcc_lo, 31, v24
	v_cndmask_b32_e64 v25, 0, 1, s1
	v_lshrrev_b32_e32 v28, 8, v10
	v_bfe_u32 v29, v10, 20, 11
	v_lshl_or_b32 v20, v20, 9, 0x7c00
	v_cndmask_b32_e32 v0, 0x7c00, v0, vcc_lo
	v_cmp_ne_u32_e32 vcc_lo, 0, v9
	v_or_b32_e32 v13, v13, v25
	v_lshl_or_b32 v25, v27, 12, v26
	v_mul_f64 v[22:23], v[22:23], s[6:7]
	global_store_dword v[18:19], v11, off
	v_cndmask_b32_e64 v9, 0, 1, vcc_lo
	v_cmp_gt_i32_e32 vcc_lo, 1, v27
	v_and_or_b32 v9, 0xffe, v28, v9
	v_cndmask_b32_e32 v13, v25, v13, vcc_lo
	s_waitcnt lgkmcnt(0)
	v_lshrrev_b32_e32 v25, 16, v6
	v_cmp_eq_u32_e32 vcc_lo, 0x40f, v24
	v_sub_nc_u32_e32 v28, 0x3f1, v29
	v_or_b32_e32 v31, 0x1000, v9
	v_and_b32_e32 v16, 7, v13
	v_mul_f16_sdwa v30, v56, v25 dst_sel:DWORD dst_unused:UNUSED_PAD src0_sel:WORD_1 src1_sel:DWORD
	v_cndmask_b32_e32 v0, v0, v20, vcc_lo
	v_lshrrev_b32_e32 v13, 2, v13
	v_med3_i32 v28, v28, 0, 13
	v_cmp_lt_i32_e32 vcc_lo, 5, v16
	v_cmp_eq_u32_e64 s0, 3, v16
	v_fmac_f16_e32 v30, v56, v6
	v_lshrrev_b32_e32 v20, 16, v21
	v_lshrrev_b32_e32 v24, v28, v31
	v_and_or_b32 v22, 0x1ff, v23, v22
	s_or_b32 vcc_lo, s0, vcc_lo
	v_cvt_f32_f16_e32 v16, v30
	v_add_co_ci_u32_e32 v13, vcc_lo, 0, v13, vcc_lo
	v_cmp_ne_u32_e32 vcc_lo, 0, v26
	v_and_or_b32 v0, 0x8000, v20, v0
	v_cvt_f64_f32_e32 v[20:21], v16
	v_lshlrev_b32_e32 v28, v28, v24
	v_lshrrev_b32_e32 v26, 8, v23
	v_cndmask_b32_e64 v16, 0, 1, vcc_lo
	v_cmp_gt_i32_e32 vcc_lo, 31, v27
	v_bfe_u32 v30, v23, 20, 11
	v_mul_f16_sdwa v6, v56, v6 dst_sel:DWORD dst_unused:UNUSED_PAD src0_sel:WORD_1 src1_sel:DWORD
	v_and_b32_e32 v0, 0xffff, v0
	v_lshl_or_b32 v16, v16, 9, 0x7c00
	v_cndmask_b32_e32 v13, 0x7c00, v13, vcc_lo
	v_cmp_ne_u32_e32 vcc_lo, 0, v22
	v_fma_f16 v6, v56, v25, -v6
	v_cndmask_b32_e64 v22, 0, 1, vcc_lo
	v_cmp_ne_u32_e32 vcc_lo, v28, v31
	v_cvt_f32_f16_e32 v6, v6
	v_and_or_b32 v22, 0xffe, v26, v22
	v_cndmask_b32_e64 v28, 0, 1, vcc_lo
	v_sub_nc_u32_e32 v26, 0x3f1, v30
	v_cmp_eq_u32_e32 vcc_lo, 0x40f, v27
	v_mul_f64 v[20:21], v[20:21], s[6:7]
	v_add_nc_u32_e32 v27, 0xfffffc10, v29
	v_or_b32_e32 v24, v24, v28
	v_med3_i32 v26, v26, 0, 13
	v_cndmask_b32_e32 v13, v13, v16, vcc_lo
	v_or_b32_e32 v16, 0x1000, v22
	v_lshl_or_b32 v28, v27, 12, v9
	v_cmp_gt_i32_e32 vcc_lo, 1, v27
	v_and_or_b32 v13, 0x8000, v17, v13
	v_lshrrev_b32_e32 v29, v26, v16
	v_cndmask_b32_e32 v24, v28, v24, vcc_lo
	v_lshl_or_b32 v0, v13, 16, v0
	v_lshlrev_b32_e32 v17, v26, v29
	v_add_nc_u32_e32 v26, 0xfffffc10, v30
	v_and_b32_e32 v11, 7, v24
	v_cmp_ne_u32_e32 vcc_lo, v17, v16
	v_cvt_f64_f32_e32 v[16:17], v6
	v_cmp_eq_u32_e64 s0, 3, v11
	v_lshl_or_b32 v13, v26, 12, v22
	v_and_or_b32 v20, 0x1ff, v21, v20
	v_cndmask_b32_e64 v25, 0, 1, vcc_lo
	v_cmp_lt_i32_e32 vcc_lo, 5, v11
	v_cmp_gt_i32_e64 s1, 1, v26
	v_lshrrev_b32_e32 v11, 2, v24
	v_or_b32_e32 v6, v29, v25
	s_or_b32 vcc_lo, s0, vcc_lo
	v_bfe_u32 v25, v21, 20, 11
	v_add_co_ci_u32_e32 v11, vcc_lo, 0, v11, vcc_lo
	v_cndmask_b32_e64 v6, v13, v6, s1
	v_cmp_ne_u32_e64 s1, 0, v20
	v_cmp_ne_u32_e32 vcc_lo, 0, v9
	v_lshrrev_b32_e32 v20, 8, v21
	v_and_b32_e32 v24, 7, v6
	v_cndmask_b32_e64 v13, 0, 1, s1
	v_cndmask_b32_e64 v9, 0, 1, vcc_lo
	v_cmp_gt_i32_e32 vcc_lo, 31, v27
	v_mul_f64 v[16:17], v[16:17], s[6:7]
	v_cmp_eq_u32_e64 s0, 3, v24
	v_and_or_b32 v13, 0xffe, v20, v13
	v_sub_nc_u32_e32 v20, 0x3f1, v25
	v_cndmask_b32_e32 v11, 0x7c00, v11, vcc_lo
	v_cmp_lt_i32_e32 vcc_lo, 5, v24
	v_lshrrev_b32_e32 v6, 2, v6
	v_lshl_or_b32 v9, v9, 9, 0x7c00
	v_or_b32_e32 v28, 0x1000, v13
	v_med3_i32 v20, v20, 0, 13
	v_cmp_eq_u32_e64 s1, 0x40f, v27
	s_or_b32 vcc_lo, s0, vcc_lo
	v_lshrrev_b32_e32 v27, 16, v12
	v_add_co_ci_u32_e32 v6, vcc_lo, 0, v6, vcc_lo
	v_cndmask_b32_e64 v24, v11, v9, s1
	v_lshrrev_b32_e32 v9, v20, v28
	v_cmp_ne_u32_e32 vcc_lo, 0, v22
	v_lshrrev_b32_e32 v22, 16, v10
	v_mul_f16_sdwa v10, v53, v27 dst_sel:DWORD dst_unused:UNUSED_PAD src0_sel:WORD_1 src1_sel:DWORD
	v_add_nc_u32_e32 v25, 0xfffffc10, v25
	v_lshlrev_b32_e32 v11, v20, v9
	v_cndmask_b32_e64 v20, 0, 1, vcc_lo
	v_cmp_gt_i32_e32 vcc_lo, 31, v26
	v_fmac_f16_e32 v10, v53, v12
	v_and_or_b32 v16, 0x1ff, v17, v16
	v_lshrrev_b32_e32 v29, 8, v17
	v_lshl_or_b32 v20, v20, 9, 0x7c00
	v_cndmask_b32_e32 v6, 0x7c00, v6, vcc_lo
	v_cmp_ne_u32_e32 vcc_lo, v11, v28
	v_bfe_u32 v30, v17, 20, 11
	v_lshl_or_b32 v28, v25, 12, v13
	v_and_or_b32 v24, 0x8000, v22, v24
	v_lshrrev_b32_e32 v17, 16, v17
	v_cndmask_b32_e64 v11, 0, 1, vcc_lo
	v_cmp_ne_u32_e32 vcc_lo, 0, v16
	v_and_b32_e32 v24, 0xffff, v24
	v_or_b32_e32 v11, v9, v11
	v_cvt_f32_f16_e32 v9, v10
	v_cndmask_b32_e64 v16, 0, 1, vcc_lo
	v_cmp_eq_u32_e32 vcc_lo, 0x40f, v26
	v_cvt_f64_f32_e32 v[9:10], v9
	v_and_or_b32 v16, 0xffe, v29, v16
	v_cndmask_b32_e32 v6, v6, v20, vcc_lo
	v_cmp_gt_i32_e32 vcc_lo, 1, v25
	v_sub_nc_u32_e32 v20, 0x3f1, v30
	v_or_b32_e32 v29, 0x1000, v16
	v_cndmask_b32_e32 v26, v28, v11, vcc_lo
	v_mul_f16_sdwa v28, v53, v12 dst_sel:DWORD dst_unused:UNUSED_PAD src0_sel:WORD_1 src1_sel:DWORD
	v_med3_i32 v20, v20, 0, 13
	v_add_co_u32 v11, vcc_lo, v18, s5
	v_add_co_ci_u32_e32 v12, vcc_lo, s4, v19, vcc_lo
	v_fma_f16 v19, v53, v27, -v28
	v_lshrrev_b32_e32 v18, 16, v23
	v_and_b32_e32 v23, 7, v26
	v_lshrrev_b32_e32 v31, v20, v29
	global_store_dword v[11:12], v0, off
	v_cvt_f32_f16_e32 v22, v19
	v_and_or_b32 v6, 0x8000, v18, v6
	v_cmp_lt_i32_e32 vcc_lo, 5, v23
	v_cmp_eq_u32_e64 s0, 3, v23
	v_mul_f64 v[18:19], v[9:10], s[6:7]
	v_lshlrev_b32_e32 v20, v20, v31
	v_lshrrev_b32_e32 v9, 2, v26
	v_cvt_f64_f32_e32 v[22:23], v22
	s_or_b32 vcc_lo, s0, vcc_lo
	v_add_nc_u32_e32 v26, 0xfffffc10, v30
	v_cmp_ne_u32_e64 s1, v20, v29
	v_add_co_ci_u32_e32 v20, vcc_lo, 0, v9, vcc_lo
	v_cmp_ne_u32_e32 vcc_lo, 0, v13
	v_lshl_or_b32 v28, v26, 12, v16
	v_cndmask_b32_e64 v10, 0, 1, s1
	v_lshl_or_b32 v6, v6, 16, v24
	v_cndmask_b32_e64 v13, 0, 1, vcc_lo
	v_cmp_gt_i32_e32 vcc_lo, 31, v25
	v_or_b32_e32 v27, v31, v10
	ds_read2st64_b32 v[9:10], v50 offset0:56 offset1:58
	v_lshl_or_b32 v13, v13, 9, 0x7c00
	v_cndmask_b32_e32 v20, 0x7c00, v20, vcc_lo
	v_cmp_gt_i32_e32 vcc_lo, 1, v26
	v_and_or_b32 v18, 0x1ff, v19, v18
	v_lshrrev_b32_e32 v24, 8, v19
	v_mul_f64 v[22:23], v[22:23], s[6:7]
	v_cndmask_b32_e32 v27, v28, v27, vcc_lo
	v_cmp_eq_u32_e32 vcc_lo, 0x40f, v25
	v_bfe_u32 v28, v19, 20, 11
	v_lshrrev_b32_e32 v25, 16, v21
	v_cndmask_b32_e32 v13, v20, v13, vcc_lo
	v_cmp_ne_u32_e32 vcc_lo, 0, v18
	v_and_b32_e32 v20, 7, v27
	v_lshrrev_b32_e32 v27, 2, v27
	v_sub_nc_u32_e32 v29, 0x3f1, v28
	v_and_or_b32 v13, 0x8000, v25, v13
	v_cndmask_b32_e64 v18, 0, 1, vcc_lo
	v_cmp_lt_i32_e32 vcc_lo, 5, v20
	v_cmp_eq_u32_e64 s0, 3, v20
	v_med3_i32 v29, v29, 0, 13
	v_add_co_u32 v20, s1, v11, s5
	v_and_or_b32 v18, 0xffe, v24, v18
	s_or_b32 vcc_lo, s0, vcc_lo
	s_waitcnt lgkmcnt(0)
	v_lshrrev_b32_e32 v24, 16, v9
	v_add_co_ci_u32_e32 v27, vcc_lo, 0, v27, vcc_lo
	v_or_b32_e32 v30, 0x1000, v18
	v_cmp_ne_u32_e32 vcc_lo, 0, v16
	v_mul_f16_sdwa v31, v54, v24 dst_sel:DWORD dst_unused:UNUSED_PAD src0_sel:WORD_1 src1_sel:DWORD
	v_and_or_b32 v0, 0x1ff, v23, v22
	v_bfe_u32 v32, v23, 20, 11
	v_lshrrev_b32_e32 v22, v29, v30
	v_cndmask_b32_e64 v16, 0, 1, vcc_lo
	v_cmp_gt_i32_e32 vcc_lo, 31, v26
	v_fmac_f16_e32 v31, v54, v9
	v_sub_nc_u32_e32 v25, 0x3f1, v32
	v_lshlrev_b32_e32 v29, v29, v22
	v_lshl_or_b32 v16, v16, 9, 0x7c00
	v_cndmask_b32_e32 v27, 0x7c00, v27, vcc_lo
	v_cmp_ne_u32_e32 vcc_lo, 0, v0
	v_cvt_f32_f16_e32 v11, v31
	v_lshrrev_b32_e32 v31, 8, v23
	v_add_nc_u32_e32 v28, 0xfffffc10, v28
	v_add_co_ci_u32_e64 v21, s1, s4, v12, s1
	v_cndmask_b32_e64 v0, 0, 1, vcc_lo
	v_cmp_ne_u32_e32 vcc_lo, v29, v30
	v_cvt_f64_f32_e32 v[11:12], v11
	v_med3_i32 v25, v25, 0, 13
	v_mul_f16_sdwa v9, v54, v9 dst_sel:DWORD dst_unused:UNUSED_PAD src0_sel:WORD_1 src1_sel:DWORD
	v_and_or_b32 v0, 0xffe, v31, v0
	v_cndmask_b32_e64 v29, 0, 1, vcc_lo
	v_cmp_eq_u32_e32 vcc_lo, 0x40f, v26
	v_and_b32_e32 v13, 0xffff, v13
	v_fma_f16 v9, v54, v24, -v9
	v_or_b32_e32 v26, 0x1000, v0
	v_or_b32_e32 v22, v22, v29
	v_cndmask_b32_e32 v16, v27, v16, vcc_lo
	v_lshl_or_b32 v27, v28, 12, v18
	v_cmp_gt_i32_e32 vcc_lo, 1, v28
	global_store_dword v[20:21], v6, off
	v_cvt_f32_f16_e32 v6, v9
	v_and_or_b32 v29, 0x8000, v17, v16
	v_lshrrev_b32_e32 v23, 16, v23
	v_cndmask_b32_e32 v22, v27, v22, vcc_lo
	v_lshrrev_b32_e32 v27, v25, v26
	v_and_b32_e32 v24, 7, v22
	v_lshlrev_b32_e32 v16, v25, v27
	v_mul_f64 v[11:12], v[11:12], s[6:7]
	v_add_nc_u32_e32 v25, 0xfffffc10, v32
	v_cmp_lt_i32_e32 vcc_lo, 5, v24
	v_cmp_ne_u32_e64 s0, v16, v26
	v_cvt_f64_f32_e32 v[16:17], v6
	v_lshl_or_b32 v6, v29, 16, v13
	v_lshrrev_b32_e32 v13, 2, v22
	v_lshl_or_b32 v22, v25, 12, v0
	v_cndmask_b32_e64 v9, 0, 1, s0
	v_cmp_eq_u32_e64 s0, 3, v24
	v_or_b32_e32 v9, v27, v9
	s_or_b32 vcc_lo, s0, vcc_lo
	v_lshrrev_b32_e32 v27, 16, v1
	v_add_co_ci_u32_e32 v13, vcc_lo, 0, v13, vcc_lo
	v_cmp_ne_u32_e32 vcc_lo, 0, v18
	v_and_or_b32 v11, 0x1ff, v12, v11
	v_lshrrev_b32_e32 v24, 8, v12
	v_cndmask_b32_e64 v18, 0, 1, vcc_lo
	v_cmp_gt_i32_e32 vcc_lo, 1, v25
	v_bfe_u32 v26, v12, 20, 11
	v_mul_f64 v[16:17], v[16:17], s[6:7]
	v_lshrrev_b32_e32 v12, 16, v12
	v_lshl_or_b32 v18, v18, 9, 0x7c00
	v_cndmask_b32_e32 v9, v22, v9, vcc_lo
	v_add_co_u32 v20, vcc_lo, v20, s5
	v_add_co_ci_u32_e32 v21, vcc_lo, s4, v21, vcc_lo
	v_cmp_gt_i32_e32 vcc_lo, 31, v28
	v_and_b32_e32 v22, 7, v9
	v_lshrrev_b32_e32 v9, 2, v9
	global_store_dword v[20:21], v6, off
	v_cndmask_b32_e32 v13, 0x7c00, v13, vcc_lo
	v_cmp_ne_u32_e32 vcc_lo, 0, v11
	v_cmp_eq_u32_e64 s0, 3, v22
	v_cndmask_b32_e64 v11, 0, 1, vcc_lo
	v_cmp_eq_u32_e32 vcc_lo, 0x40f, v28
	v_lshrrev_b32_e32 v28, 16, v19
	v_sub_nc_u32_e32 v19, 0x3f1, v26
	v_and_or_b32 v16, 0x1ff, v17, v16
	v_and_or_b32 v11, 0xffe, v24, v11
	v_cndmask_b32_e32 v13, v13, v18, vcc_lo
	v_cmp_lt_i32_e32 vcc_lo, 5, v22
	v_mul_f16_sdwa v18, v52, v27 dst_sel:DWORD dst_unused:UNUSED_PAD src0_sel:WORD_1 src1_sel:DWORD
	v_med3_i32 v24, v19, 0, 13
	v_or_b32_e32 v22, 0x1000, v11
	v_and_or_b32 v13, 0x8000, v28, v13
	s_or_b32 vcc_lo, s0, vcc_lo
	v_fmac_f16_e32 v18, v52, v1
	v_add_co_ci_u32_e32 v9, vcc_lo, 0, v9, vcc_lo
	v_cmp_ne_u32_e32 vcc_lo, 0, v0
	v_lshrrev_b32_e32 v29, v24, v22
	v_cvt_f32_f16_e32 v18, v18
	v_lshrrev_b32_e32 v28, 8, v17
	v_bfe_u32 v30, v17, 20, 11
	v_cndmask_b32_e64 v0, 0, 1, vcc_lo
	v_cmp_gt_i32_e32 vcc_lo, 31, v25
	v_cvt_f64_f32_e32 v[18:19], v18
	v_lshlrev_b32_e32 v24, v24, v29
	v_and_b32_e32 v13, 0xffff, v13
	v_lshl_or_b32 v0, v0, 9, 0x7c00
	v_cndmask_b32_e32 v9, 0x7c00, v9, vcc_lo
	v_cmp_ne_u32_e32 vcc_lo, 0, v16
	v_mul_f16_sdwa v1, v52, v1 dst_sel:DWORD dst_unused:UNUSED_PAD src0_sel:WORD_1 src1_sel:DWORD
	v_lshrrev_b32_e32 v17, 16, v17
	v_cndmask_b32_e64 v16, 0, 1, vcc_lo
	v_cmp_eq_u32_e32 vcc_lo, 0x40f, v25
	v_fma_f16 v1, v52, v27, -v1
	v_and_or_b32 v16, 0xffe, v28, v16
	v_cndmask_b32_e32 v0, v9, v0, vcc_lo
	v_cmp_ne_u32_e32 vcc_lo, v24, v22
	v_sub_nc_u32_e32 v22, 0x3f1, v30
	v_add_nc_u32_e32 v24, 0xfffffc10, v26
	v_or_b32_e32 v25, 0x1000, v16
	v_and_or_b32 v0, 0x8000, v23, v0
	v_cndmask_b32_e64 v9, 0, 1, vcc_lo
	v_med3_i32 v22, v22, 0, 13
	v_lshl_or_b32 v26, v24, 12, v11
	v_cmp_gt_i32_e32 vcc_lo, 1, v24
	v_mul_f64 v[18:19], v[18:19], s[6:7]
	v_or_b32_e32 v9, v29, v9
	v_lshrrev_b32_e32 v23, v22, v25
	v_lshl_or_b32 v6, v0, 16, v13
	v_cvt_f32_f16_e32 v1, v1
	v_lshrrev_b32_e32 v28, 16, v15
	v_cndmask_b32_e32 v9, v26, v9, vcc_lo
	v_lshlrev_b32_e32 v0, v22, v23
	v_add_co_u32 v20, vcc_lo, v20, s5
	v_add_co_ci_u32_e32 v21, vcc_lo, s4, v21, vcc_lo
	v_and_b32_e32 v13, 7, v9
	v_cmp_ne_u32_e64 s1, v0, v25
	v_lshrrev_b32_e32 v9, 2, v9
	v_add_nc_u32_e32 v25, 0xfffffc10, v30
	v_cvt_f64_f32_e32 v[0:1], v1
	v_cmp_lt_i32_e32 vcc_lo, 5, v13
	v_cmp_eq_u32_e64 s0, 3, v13
	v_cndmask_b32_e64 v13, 0, 1, s1
	v_lshl_or_b32 v22, v25, 12, v16
	global_store_dword v[20:21], v6, off
	v_and_or_b32 v18, 0x1ff, v19, v18
	s_or_b32 vcc_lo, s0, vcc_lo
	v_or_b32_e32 v13, v23, v13
	v_add_co_ci_u32_e32 v9, vcc_lo, 0, v9, vcc_lo
	v_cmp_gt_i32_e32 vcc_lo, 1, v25
	v_bfe_u32 v26, v19, 20, 11
	v_cndmask_b32_e32 v13, v22, v13, vcc_lo
	v_cmp_ne_u32_e32 vcc_lo, 0, v18
	v_lshrrev_b32_e32 v22, 8, v19
	v_and_b32_e32 v23, 7, v13
	v_cndmask_b32_e64 v18, 0, 1, vcc_lo
	v_cmp_ne_u32_e32 vcc_lo, 0, v11
	v_mul_f64 v[0:1], v[0:1], s[6:7]
	v_lshrrev_b32_e32 v13, 2, v13
	v_cmp_eq_u32_e64 s0, 3, v23
	v_and_or_b32 v27, 0xffe, v22, v18
	v_cndmask_b32_e64 v11, 0, 1, vcc_lo
	v_cmp_gt_i32_e32 vcc_lo, 31, v24
	v_sub_nc_u32_e32 v18, 0x3f1, v26
	v_mul_f16_sdwa v22, v51, v28 dst_sel:DWORD dst_unused:UNUSED_PAD src0_sel:WORD_1 src1_sel:DWORD
	v_or_b32_e32 v29, 0x1000, v27
	v_lshl_or_b32 v11, v11, 9, 0x7c00
	v_cndmask_b32_e32 v9, 0x7c00, v9, vcc_lo
	v_cmp_lt_i32_e32 vcc_lo, 5, v23
	v_med3_i32 v18, v18, 0, 13
	v_fmac_f16_e32 v22, v51, v15
	s_or_b32 vcc_lo, s0, vcc_lo
	v_lshrrev_b32_e32 v30, v18, v29
	v_add_co_ci_u32_e32 v13, vcc_lo, 0, v13, vcc_lo
	v_cmp_eq_u32_e32 vcc_lo, 0x40f, v24
	v_cvt_f32_f16_e32 v22, v22
	v_lshlrev_b32_e32 v18, v18, v30
	v_and_or_b32 v0, 0x1ff, v1, v0
	v_add_nc_u32_e32 v24, 0xfffffc10, v26
	v_cndmask_b32_e32 v9, v9, v11, vcc_lo
	v_cmp_ne_u32_e32 vcc_lo, 0, v16
	v_cvt_f64_f32_e32 v[22:23], v22
	v_bfe_u32 v26, v1, 20, 11
	v_and_or_b32 v9, 0x8000, v12, v9
	v_cndmask_b32_e64 v11, 0, 1, vcc_lo
	v_cmp_gt_i32_e32 vcc_lo, 31, v25
	v_and_b32_e32 v9, 0xffff, v9
	v_lshl_or_b32 v11, v11, 9, 0x7c00
	v_cndmask_b32_e32 v13, 0x7c00, v13, vcc_lo
	v_cmp_ne_u32_e32 vcc_lo, v18, v29
	v_lshrrev_b32_e32 v18, 8, v1
	v_lshrrev_b32_e32 v1, 16, v1
	v_cndmask_b32_e64 v16, 0, 1, vcc_lo
	v_cmp_ne_u32_e32 vcc_lo, 0, v0
	v_or_b32_e32 v16, v30, v16
	v_cndmask_b32_e64 v0, 0, 1, vcc_lo
	v_cmp_eq_u32_e32 vcc_lo, 0x40f, v25
	v_and_or_b32 v25, 0xffe, v18, v0
	v_sub_nc_u32_e32 v0, 0x3f1, v26
	v_cndmask_b32_e32 v13, v13, v11, vcc_lo
	v_lshl_or_b32 v18, v24, 12, v27
	v_cmp_gt_i32_e32 vcc_lo, 1, v24
	v_or_b32_e32 v29, 0x1000, v25
	v_med3_i32 v30, v0, 0, 13
	v_mul_f16_sdwa v0, v51, v15 dst_sel:DWORD dst_unused:UNUSED_PAD src0_sel:WORD_1 src1_sel:DWORD
	v_and_or_b32 v13, 0x8000, v17, v13
	v_mul_f64 v[11:12], v[22:23], s[6:7]
	v_cndmask_b32_e32 v15, v18, v16, vcc_lo
	v_lshrrev_b32_e32 v17, v30, v29
	v_fma_f16 v16, v51, v28, -v0
	v_lshl_or_b32 v0, v13, 16, v9
	v_lshrrev_b32_e32 v23, 16, v2
	v_and_b32_e32 v18, 7, v15
	v_lshlrev_b32_e32 v9, v30, v17
	v_cvt_f32_f16_e32 v6, v16
	v_lshrrev_b32_e32 v13, 2, v15
	v_lshrrev_b32_e32 v30, 16, v14
	v_cmp_lt_i32_e32 vcc_lo, 5, v18
	v_cmp_ne_u32_e64 s1, v9, v29
	v_cmp_eq_u32_e64 s0, 3, v18
	v_cvt_f64_f32_e32 v[15:16], v6
	v_add_nc_u32_e32 v9, 0xfffffc10, v26
	v_cndmask_b32_e64 v6, 0, 1, s1
	s_or_b32 vcc_lo, s0, vcc_lo
	v_cmp_eq_u32_e64 s1, 0x40f, v24
	v_add_co_ci_u32_e32 v13, vcc_lo, 0, v13, vcc_lo
	v_or_b32_e32 v6, v17, v6
	v_add_co_u32 v17, vcc_lo, v20, s5
	v_add_co_ci_u32_e32 v18, vcc_lo, s4, v21, vcc_lo
	v_and_or_b32 v11, 0x1ff, v12, v11
	v_cmp_ne_u32_e32 vcc_lo, 0, v27
	v_lshl_or_b32 v22, v9, 12, v25
	v_lshrrev_b32_e32 v21, 8, v12
	v_bfe_u32 v26, v12, 20, 11
	v_cndmask_b32_e64 v20, 0, 1, vcc_lo
	v_cmp_ne_u32_e32 vcc_lo, 0, v11
	v_mul_f64 v[15:16], v[15:16], s[6:7]
	v_lshl_or_b32 v20, v20, 9, 0x7c00
	v_cndmask_b32_e64 v11, 0, 1, vcc_lo
	v_cmp_gt_i32_e32 vcc_lo, 1, v9
	v_and_or_b32 v11, 0xffe, v21, v11
	v_cndmask_b32_e32 v6, v22, v6, vcc_lo
	v_mul_f16_sdwa v21, v216, v23 dst_sel:DWORD dst_unused:UNUSED_PAD src0_sel:WORD_1 src1_sel:DWORD
	v_cmp_gt_i32_e32 vcc_lo, 31, v24
	v_sub_nc_u32_e32 v22, 0x3f1, v26
	v_or_b32_e32 v28, 0x1000, v11
	v_and_b32_e32 v27, 7, v6
	v_fmac_f16_e32 v21, v216, v2
	v_cndmask_b32_e32 v13, 0x7c00, v13, vcc_lo
	v_lshrrev_b32_e32 v6, 2, v6
	v_med3_i32 v22, v22, 0, 13
	v_cmp_lt_i32_e32 vcc_lo, 5, v27
	v_cmp_eq_u32_e64 s0, 3, v27
	v_cvt_f32_f16_e32 v21, v21
	v_cndmask_b32_e64 v13, v13, v20, s1
	v_lshrrev_b32_e32 v27, v22, v28
	v_and_or_b32 v15, 0x1ff, v16, v15
	s_or_b32 vcc_lo, s0, vcc_lo
	v_cvt_f64_f32_e32 v[20:21], v21
	v_add_co_ci_u32_e32 v6, vcc_lo, 0, v6, vcc_lo
	v_cmp_ne_u32_e32 vcc_lo, 0, v25
	v_lshlrev_b32_e32 v22, v22, v27
	v_lshrrev_b32_e32 v25, 16, v19
	v_add_nc_u32_e32 v26, 0xfffffc10, v26
	v_mul_f16_sdwa v2, v216, v2 dst_sel:DWORD dst_unused:UNUSED_PAD src0_sel:WORD_1 src1_sel:DWORD
	v_cndmask_b32_e64 v24, 0, 1, vcc_lo
	v_cmp_gt_i32_e32 vcc_lo, 31, v9
	v_and_or_b32 v13, 0x8000, v25, v13
	v_lshl_or_b32 v29, v26, 12, v11
	v_fma_f16 v2, v216, v23, -v2
	v_lshl_or_b32 v24, v24, 9, 0x7c00
	v_cndmask_b32_e32 v6, 0x7c00, v6, vcc_lo
	v_cmp_ne_u32_e32 vcc_lo, v22, v28
	v_lshrrev_b32_e32 v22, 8, v16
	v_bfe_u32 v28, v16, 20, 11
	v_cvt_f32_f16_e32 v2, v2
	v_and_b32_e32 v13, 0xffff, v13
	v_cndmask_b32_e64 v19, 0, 1, vcc_lo
	v_cmp_ne_u32_e32 vcc_lo, 0, v15
	v_lshrrev_b32_e32 v16, 16, v16
	v_or_b32_e32 v27, v27, v19
	v_cndmask_b32_e64 v15, 0, 1, vcc_lo
	v_cmp_eq_u32_e32 vcc_lo, 0x40f, v9
	v_mul_f64 v[19:20], v[20:21], s[6:7]
	v_and_or_b32 v15, 0xffe, v22, v15
	v_cndmask_b32_e32 v6, v6, v24, vcc_lo
	v_cmp_gt_i32_e32 vcc_lo, 1, v26
	v_sub_nc_u32_e32 v22, 0x3f1, v28
	v_or_b32_e32 v21, 0x1000, v15
	v_and_or_b32 v6, 0x8000, v1, v6
	v_cndmask_b32_e32 v9, v29, v27, vcc_lo
	v_med3_i32 v22, v22, 0, 13
	v_cvt_f64_f32_e32 v[1:2], v2
	v_lshl_or_b32 v6, v6, 16, v13
	v_and_b32_e32 v24, 7, v9
	v_lshrrev_b32_e32 v23, v22, v21
	v_lshrrev_b32_e32 v9, 2, v9
	v_cmp_lt_i32_e32 vcc_lo, 5, v24
	v_cmp_eq_u32_e64 s0, 3, v24
	v_lshlrev_b32_e32 v22, v22, v23
	v_and_or_b32 v13, 0x1ff, v20, v19
	v_add_nc_u32_e32 v24, 0xfffffc10, v28
	s_or_b32 vcc_lo, s0, vcc_lo
	v_cmp_ne_u32_e64 s1, v22, v21
	v_add_co_ci_u32_e32 v9, vcc_lo, 0, v9, vcc_lo
	v_cmp_ne_u32_e32 vcc_lo, 0, v13
	v_lshrrev_b32_e32 v21, 8, v20
	v_cndmask_b32_e64 v19, 0, 1, s1
	v_lshl_or_b32 v22, v24, 12, v15
	v_mul_f64 v[1:2], v[1:2], s[6:7]
	v_cndmask_b32_e64 v13, 0, 1, vcc_lo
	v_cmp_ne_u32_e32 vcc_lo, 0, v11
	v_or_b32_e32 v19, v23, v19
	v_bfe_u32 v23, v20, 20, 11
	v_cmp_eq_u32_e64 s1, 0x40f, v24
	v_and_or_b32 v25, 0xffe, v21, v13
	v_cndmask_b32_e64 v11, 0, 1, vcc_lo
	v_cmp_gt_i32_e32 vcc_lo, 1, v24
	v_sub_nc_u32_e32 v13, 0x3f1, v23
	v_add_nc_u32_e32 v23, 0xfffffc10, v23
	v_or_b32_e32 v27, 0x1000, v25
	v_lshl_or_b32 v11, v11, 9, 0x7c00
	v_cndmask_b32_e32 v19, v22, v19, vcc_lo
	v_cmp_gt_i32_e32 vcc_lo, 31, v26
	v_med3_i32 v13, v13, 0, 13
	v_mad_u64_u32 v[21:22], null, 0xffffcc00, s8, v[17:18]
	v_and_b32_e32 v28, 7, v19
	v_cndmask_b32_e32 v9, 0x7c00, v9, vcc_lo
	v_cmp_eq_u32_e32 vcc_lo, 0x40f, v26
	v_lshrrev_b32_e32 v29, v13, v27
	v_lshrrev_b32_e32 v19, 2, v19
	v_cmp_eq_u32_e64 s0, 3, v28
	v_and_or_b32 v1, 0x1ff, v2, v1
	v_cndmask_b32_e32 v9, v9, v11, vcc_lo
	v_cmp_lt_i32_e32 vcc_lo, 5, v28
	v_lshlrev_b32_e32 v13, v13, v29
	v_lshrrev_b32_e32 v11, 16, v12
	v_mul_f16_sdwa v12, v155, v30 dst_sel:DWORD dst_unused:UNUSED_PAD src0_sel:WORD_1 src1_sel:DWORD
	v_bfe_u32 v26, v2, 20, 11
	s_or_b32 vcc_lo, s0, vcc_lo
	v_lshl_or_b32 v28, v23, 12, v25
	v_add_co_ci_u32_e32 v19, vcc_lo, 0, v19, vcc_lo
	v_cmp_ne_u32_e32 vcc_lo, v13, v27
	v_fmac_f16_e32 v12, v155, v14
	v_and_or_b32 v9, 0x8000, v11, v9
	v_lshrrev_b32_e32 v13, 8, v2
	v_mul_f16_sdwa v14, v155, v14 dst_sel:DWORD dst_unused:UNUSED_PAD src0_sel:WORD_1 src1_sel:DWORD
	v_cndmask_b32_e64 v11, 0, 1, vcc_lo
	v_cmp_ne_u32_e32 vcc_lo, 0, v1
	v_cvt_f32_f16_e32 v12, v12
	v_and_b32_e32 v9, 0xffff, v9
	v_fma_f16 v14, v155, v30, -v14
	v_or_b32_e32 v27, v29, v11
	v_cndmask_b32_e64 v1, 0, 1, vcc_lo
	v_cmp_gt_i32_e32 vcc_lo, 1, v23
	v_cvt_f64_f32_e32 v[11:12], v12
	v_cvt_f32_f16_e32 v14, v14
	v_add_nc_u32_e32 v22, s2, v22
	v_and_or_b32 v1, 0xffe, v13, v1
	v_sub_nc_u32_e32 v13, 0x3f1, v26
	v_cndmask_b32_e32 v27, v28, v27, vcc_lo
	v_cmp_ne_u32_e32 vcc_lo, 0, v15
	v_add_nc_u32_e32 v26, 0xfffffc10, v26
	v_or_b32_e32 v28, 0x1000, v1
	v_med3_i32 v13, v13, 0, 13
	v_and_b32_e32 v29, 7, v27
	v_cndmask_b32_e64 v15, 0, 1, vcc_lo
	v_cmp_gt_i32_e32 vcc_lo, 31, v24
	v_lshrrev_b32_e32 v24, 2, v27
	v_lshrrev_b32_e32 v30, v13, v28
	v_cmp_eq_u32_e64 s0, 3, v29
	v_lshl_or_b32 v15, v15, 9, 0x7c00
	v_cndmask_b32_e32 v19, 0x7c00, v19, vcc_lo
	v_cmp_lt_i32_e32 vcc_lo, 5, v29
	v_lshl_or_b32 v27, v26, 12, v1
	global_store_dword v[17:18], v0, off
	global_store_dword v[21:22], v6, off
	v_lshrrev_b32_e32 v20, 16, v20
	v_cndmask_b32_e64 v15, v19, v15, s1
	v_lshlrev_b32_e32 v19, v13, v30
	s_or_b32 vcc_lo, s0, vcc_lo
	v_mul_f64 v[11:12], v[11:12], s[6:7]
	v_cvt_f64_f32_e32 v[13:14], v14
	v_add_co_ci_u32_e32 v24, vcc_lo, 0, v24, vcc_lo
	v_cmp_ne_u32_e32 vcc_lo, v19, v28
	v_and_or_b32 v15, 0x8000, v16, v15
	v_lshrrev_b32_e32 v2, 16, v2
	v_cndmask_b32_e64 v19, 0, 1, vcc_lo
	v_cmp_ne_u32_e32 vcc_lo, 0, v25
	v_lshl_or_b32 v6, v15, 16, v9
	v_lshrrev_b32_e32 v9, 16, v3
	v_or_b32_e32 v19, v30, v19
	v_cndmask_b32_e64 v25, 0, 1, vcc_lo
	v_cmp_gt_i32_e32 vcc_lo, 31, v23
	v_mul_f16_sdwa v17, v152, v9 dst_sel:DWORD dst_unused:UNUSED_PAD src0_sel:WORD_1 src1_sel:DWORD
	v_lshl_or_b32 v25, v25, 9, 0x7c00
	v_cndmask_b32_e32 v24, 0x7c00, v24, vcc_lo
	v_cmp_gt_i32_e32 vcc_lo, 1, v26
	v_and_or_b32 v11, 0x1ff, v12, v11
	v_mul_f64 v[13:14], v[13:14], s[6:7]
	v_bfe_u32 v15, v12, 20, 11
	v_fmac_f16_e32 v17, v152, v3
	v_cndmask_b32_e32 v16, v27, v19, vcc_lo
	v_cmp_eq_u32_e32 vcc_lo, 0x40f, v23
	v_cmp_ne_u32_e64 s0, 0, v11
	v_lshrrev_b32_e32 v11, 8, v12
	v_mul_f16_sdwa v3, v152, v3 dst_sel:DWORD dst_unused:UNUSED_PAD src0_sel:WORD_1 src1_sel:DWORD
	v_and_b32_e32 v23, 7, v16
	v_cndmask_b32_e32 v19, v24, v25, vcc_lo
	v_cndmask_b32_e64 v0, 0, 1, s0
	v_lshrrev_b32_e32 v16, 2, v16
	v_fma_f16 v9, v152, v9, -v3
	v_cmp_lt_i32_e32 vcc_lo, 5, v23
	v_cmp_eq_u32_e64 s0, 3, v23
	v_and_or_b32 v11, 0xffe, v11, v0
	v_sub_nc_u32_e32 v0, 0x3f1, v15
	v_and_or_b32 v19, 0x8000, v20, v19
	v_cvt_f32_f16_e32 v9, v9
	s_or_b32 vcc_lo, s0, vcc_lo
	v_or_b32_e32 v18, 0x1000, v11
	v_add_co_ci_u32_e32 v16, vcc_lo, 0, v16, vcc_lo
	v_cmp_ne_u32_e32 vcc_lo, 0, v1
	v_med3_i32 v23, v0, 0, 13
	v_cvt_f32_f16_e32 v0, v17
	v_and_or_b32 v13, 0x1ff, v14, v13
	v_lshrrev_b32_e32 v25, 8, v14
	v_cndmask_b32_e64 v17, 0, 1, vcc_lo
	v_cmp_gt_i32_e32 vcc_lo, 31, v26
	v_lshrrev_b32_e32 v24, v23, v18
	v_bfe_u32 v27, v14, 20, 11
	v_cvt_f64_f32_e32 v[0:1], v0
	v_lshl_or_b32 v17, v17, 9, 0x7c00
	v_cndmask_b32_e32 v16, 0x7c00, v16, vcc_lo
	v_cmp_ne_u32_e32 vcc_lo, 0, v13
	v_lshlrev_b32_e32 v23, v23, v24
	v_sub_nc_u32_e32 v20, 0x3f1, v27
	v_and_b32_e32 v19, 0xffff, v19
	v_lshrrev_b32_e32 v12, 16, v12
	v_cndmask_b32_e64 v13, 0, 1, vcc_lo
	v_cmp_ne_u32_e32 vcc_lo, v23, v18
	v_add_nc_u32_e32 v23, 0xfffffc10, v15
	v_med3_i32 v20, v20, 0, 13
	v_and_or_b32 v13, 0xffe, v25, v13
	v_cndmask_b32_e64 v18, 0, 1, vcc_lo
	v_cmp_eq_u32_e32 vcc_lo, 0x40f, v26
	v_or_b32_e32 v15, 0x1000, v13
	v_cndmask_b32_e32 v16, v16, v17, vcc_lo
	v_or_b32_e32 v17, v24, v18
	v_lshl_or_b32 v18, v23, 12, v11
	v_lshrrev_b32_e32 v24, v20, v15
	v_cmp_gt_i32_e32 vcc_lo, 1, v23
	v_mul_f64 v[0:1], v[0:1], s[6:7]
	v_cndmask_b32_e32 v17, v18, v17, vcc_lo
	v_and_or_b32 v18, 0x8000, v2, v16
	v_lshlrev_b32_e32 v16, v20, v24
	v_add_co_u32 v2, vcc_lo, v21, s5
	v_and_b32_e32 v20, 7, v17
	v_add_co_ci_u32_e32 v3, vcc_lo, s4, v22, vcc_lo
	v_cmp_ne_u32_e64 s0, v16, v15
	v_cvt_f64_f32_e32 v[15:16], v9
	v_cmp_lt_i32_e32 vcc_lo, 5, v20
	v_lshrrev_b32_e32 v9, 2, v17
	v_add_nc_u32_e32 v22, 0xfffffc10, v27
	v_cndmask_b32_e64 v21, 0, 1, s0
	v_cmp_eq_u32_e64 s0, 3, v20
	v_lshl_or_b32 v18, v18, 16, v19
	global_store_dword v[2:3], v6, off
	v_lshl_or_b32 v20, v22, 12, v13
	v_or_b32_e32 v17, v24, v21
	s_or_b32 vcc_lo, s0, vcc_lo
	v_and_or_b32 v0, 0x1ff, v1, v0
	v_add_co_ci_u32_e32 v9, vcc_lo, 0, v9, vcc_lo
	v_cmp_ne_u32_e32 vcc_lo, 0, v11
	v_bfe_u32 v21, v1, 20, 11
	v_cndmask_b32_e64 v11, 0, 1, vcc_lo
	v_cmp_gt_i32_e32 vcc_lo, 1, v22
	v_mul_f64 v[15:16], v[15:16], s[6:7]
	v_lshl_or_b32 v11, v11, 9, 0x7c00
	v_cndmask_b32_e32 v17, v20, v17, vcc_lo
	v_cmp_gt_i32_e32 vcc_lo, 31, v23
	v_lshrrev_b32_e32 v20, 8, v1
	v_lshrrev_b32_e32 v1, 16, v1
	v_and_b32_e32 v19, 7, v17
	v_cndmask_b32_e32 v9, 0x7c00, v9, vcc_lo
	v_cmp_ne_u32_e32 vcc_lo, 0, v0
	v_lshrrev_b32_e32 v17, 2, v17
	v_cmp_eq_u32_e64 s0, 3, v19
	v_cndmask_b32_e64 v0, 0, 1, vcc_lo
	v_cmp_eq_u32_e32 vcc_lo, 0x40f, v23
	v_and_or_b32 v0, 0xffe, v20, v0
	v_cndmask_b32_e32 v9, v9, v11, vcc_lo
	v_cmp_lt_i32_e32 vcc_lo, 5, v19
	v_sub_nc_u32_e32 v11, 0x3f1, v21
	v_lshrrev_b32_e32 v20, 16, v8
	v_or_b32_e32 v19, 0x1000, v0
	v_and_or_b32 v15, 0x1ff, v16, v15
	s_or_b32 vcc_lo, s0, vcc_lo
	v_med3_i32 v11, v11, 0, 13
	v_add_co_ci_u32_e32 v17, vcc_lo, 0, v17, vcc_lo
	v_cmp_ne_u32_e32 vcc_lo, 0, v13
	v_mul_f16_sdwa v23, v147, v20 dst_sel:DWORD dst_unused:UNUSED_PAD src0_sel:WORD_1 src1_sel:DWORD
	v_lshrrev_b32_e32 v24, v11, v19
	v_and_or_b32 v9, 0x8000, v12, v9
	v_add_nc_u32_e32 v21, 0xfffffc10, v21
	v_cndmask_b32_e64 v13, 0, 1, vcc_lo
	v_cmp_gt_i32_e32 vcc_lo, 31, v22
	v_fmac_f16_e32 v23, v147, v8
	v_lshlrev_b32_e32 v25, v11, v24
	v_mul_f16_sdwa v8, v147, v8 dst_sel:DWORD dst_unused:UNUSED_PAD src0_sel:WORD_1 src1_sel:DWORD
	v_lshl_or_b32 v13, v13, 9, 0x7c00
	v_cndmask_b32_e32 v17, 0x7c00, v17, vcc_lo
	v_cmp_eq_u32_e32 vcc_lo, 0x40f, v22
	v_cvt_f32_f16_e32 v23, v23
	v_bfe_u32 v22, v16, 20, 11
	v_and_b32_e32 v9, 0xffff, v9
	v_cndmask_b32_e32 v17, v17, v13, vcc_lo
	v_cmp_ne_u32_e32 vcc_lo, 0, v15
	v_lshrrev_b32_e32 v15, 8, v16
	v_cvt_f64_f32_e32 v[11:12], v23
	v_lshrrev_b32_e32 v23, 16, v14
	v_lshrrev_b32_e32 v16, 16, v16
	v_cndmask_b32_e64 v13, 0, 1, vcc_lo
	v_cmp_ne_u32_e32 vcc_lo, v25, v19
	v_and_or_b32 v17, 0x8000, v23, v17
	v_and_or_b32 v15, 0xffe, v15, v13
	v_sub_nc_u32_e32 v13, 0x3f1, v22
	v_cndmask_b32_e64 v19, 0, 1, vcc_lo
	v_lshl_or_b32 v6, v17, 16, v9
	v_add_nc_u32_e32 v17, 0xfffffc10, v22
	v_or_b32_e32 v25, 0x1000, v15
	v_med3_i32 v26, v13, 0, 13
	v_add_co_u32 v13, vcc_lo, v2, s5
	v_add_co_ci_u32_e32 v14, vcc_lo, s4, v3, vcc_lo
	v_or_b32_e32 v19, v24, v19
	v_lshl_or_b32 v24, v21, 12, v0
	v_cmp_gt_i32_e32 vcc_lo, 1, v21
	v_lshrrev_b32_e32 v23, v26, v25
	v_fma_f16 v2, v147, v20, -v8
	v_mul_f64 v[11:12], v[11:12], s[6:7]
	global_store_dword v[13:14], v18, off
	v_cndmask_b32_e32 v19, v24, v19, vcc_lo
	v_lshlrev_b32_e32 v8, v26, v23
	v_cvt_f32_f16_e32 v2, v2
	v_lshl_or_b32 v20, v17, 12, v15
	v_and_b32_e32 v3, 7, v19
	v_lshrrev_b32_e32 v9, 2, v19
	v_cmp_ne_u32_e64 s1, v8, v25
	v_cmp_lt_i32_e32 vcc_lo, 5, v3
	v_cmp_eq_u32_e64 s0, 3, v3
	v_cndmask_b32_e64 v8, 0, 1, s1
	v_cvt_f64_f32_e32 v[2:3], v2
	v_cmp_eq_u32_e64 s1, 0x40f, v21
	s_or_b32 vcc_lo, s0, vcc_lo
	v_or_b32_e32 v19, v23, v8
	v_add_co_ci_u32_e32 v18, vcc_lo, 0, v9, vcc_lo
	v_cmp_ne_u32_e32 vcc_lo, 0, v0
	v_and_or_b32 v11, 0x1ff, v12, v11
	v_cndmask_b32_e64 v0, 0, 1, vcc_lo
	v_add_co_u32 v8, vcc_lo, v13, s5
	v_add_co_ci_u32_e32 v9, vcc_lo, s4, v14, vcc_lo
	v_cmp_gt_i32_e32 vcc_lo, 1, v17
	v_lshl_or_b32 v0, v0, 9, 0x7c00
	global_store_dword v[8:9], v6, off
	v_cndmask_b32_e32 v13, v20, v19, vcc_lo
	v_cmp_gt_i32_e32 vcc_lo, 31, v21
	v_bfe_u32 v19, v12, 20, 11
	v_mul_f64 v[2:3], v[2:3], s[6:7]
	v_and_b32_e32 v20, 7, v13
	v_cndmask_b32_e32 v14, 0x7c00, v18, vcc_lo
	v_cmp_ne_u32_e32 vcc_lo, 0, v11
	v_lshrrev_b32_e32 v18, 8, v12
	v_sub_nc_u32_e32 v22, 0x3f1, v19
	v_cmp_eq_u32_e64 s0, 3, v20
	v_lshrrev_b32_e32 v13, 2, v13
	v_cndmask_b32_e64 v11, 0, 1, vcc_lo
	v_cmp_lt_i32_e32 vcc_lo, 5, v20
	v_med3_i32 v22, v22, 0, 13
	v_cndmask_b32_e64 v0, v14, v0, s1
	v_add_nc_u32_e32 v19, 0xfffffc10, v19
	v_and_or_b32 v11, 0xffe, v18, v11
	v_lshrrev_b32_e32 v18, 16, v4
	s_or_b32 vcc_lo, s0, vcc_lo
	v_and_or_b32 v0, 0x8000, v1, v0
	v_add_co_ci_u32_e32 v13, vcc_lo, 0, v13, vcc_lo
	v_or_b32_e32 v20, 0x1000, v11
	v_mul_f16_sdwa v23, v233, v18 dst_sel:DWORD dst_unused:UNUSED_PAD src0_sel:WORD_1 src1_sel:DWORD
	v_cmp_ne_u32_e32 vcc_lo, 0, v15
	v_and_or_b32 v2, 0x1ff, v3, v2
	v_bfe_u32 v24, v3, 20, 11
	v_lshrrev_b32_e32 v21, v22, v20
	v_fmac_f16_e32 v23, v233, v4
	v_cndmask_b32_e64 v15, 0, 1, vcc_lo
	v_cmp_gt_i32_e32 vcc_lo, 31, v17
	v_mul_f16_sdwa v4, v233, v4 dst_sel:DWORD dst_unused:UNUSED_PAD src0_sel:WORD_1 src1_sel:DWORD
	v_lshlrev_b32_e32 v22, v22, v21
	v_cvt_f32_f16_e32 v14, v23
	v_lshl_or_b32 v15, v15, 9, 0x7c00
	v_cndmask_b32_e32 v23, 0x7c00, v13, vcc_lo
	v_and_b32_e32 v0, 0xffff, v0
	v_cmp_ne_u32_e32 vcc_lo, v22, v20
	v_cvt_f64_f32_e32 v[13:14], v14
	v_lshrrev_b32_e32 v22, 8, v3
	v_fma_f16 v4, v233, v18, -v4
	v_cndmask_b32_e64 v20, 0, 1, vcc_lo
	v_cmp_ne_u32_e32 vcc_lo, 0, v2
	v_or_b32_e32 v20, v21, v20
	v_cndmask_b32_e64 v2, 0, 1, vcc_lo
	v_cmp_eq_u32_e32 vcc_lo, 0x40f, v17
	v_lshl_or_b32 v21, v19, 12, v11
	v_and_or_b32 v2, 0xffe, v22, v2
	v_sub_nc_u32_e32 v22, 0x3f1, v24
	v_cndmask_b32_e32 v15, v23, v15, vcc_lo
	v_cmp_gt_i32_e32 vcc_lo, 1, v19
	v_mul_f64 v[13:14], v[13:14], s[6:7]
	v_cndmask_b32_e32 v17, v21, v20, vcc_lo
	v_or_b32_e32 v20, 0x1000, v2
	v_med3_i32 v21, v22, 0, 13
	v_and_or_b32 v1, 0x8000, v16, v15
	v_lshrrev_b32_e32 v22, 16, v7
	v_and_b32_e32 v15, 7, v17
	v_lshrrev_b32_e32 v16, v21, v20
	v_lshl_or_b32 v18, v1, 16, v0
	v_cvt_f32_f16_e32 v0, v4
	v_cmp_lt_i32_e32 vcc_lo, 5, v15
	v_cmp_eq_u32_e64 s0, 3, v15
	v_lshlrev_b32_e32 v6, v21, v16
	v_lshrrev_b32_e32 v4, 2, v17
	v_add_nc_u32_e32 v17, 0xfffffc10, v24
	v_cvt_f64_f32_e32 v[0:1], v0
	s_or_b32 vcc_lo, s0, vcc_lo
	v_cmp_ne_u32_e64 s1, v6, v20
	v_add_co_ci_u32_e32 v4, vcc_lo, 0, v4, vcc_lo
	v_cmp_ne_u32_e32 vcc_lo, 0, v11
	v_lshl_or_b32 v15, v17, 12, v2
	v_cndmask_b32_e64 v6, 0, 1, s1
	v_and_or_b32 v13, 0x1ff, v14, v13
	v_bfe_u32 v20, v14, 20, 11
	v_cndmask_b32_e64 v11, 0, 1, vcc_lo
	v_cmp_gt_i32_e32 vcc_lo, 1, v17
	v_or_b32_e32 v6, v16, v6
	v_mul_f16_sdwa v24, v232, v22 dst_sel:DWORD dst_unused:UNUSED_PAD src0_sel:WORD_1 src1_sel:DWORD
	v_sub_nc_u32_e32 v23, 0x3f1, v20
	v_lshl_or_b32 v11, v11, 9, 0x7c00
	v_add_nc_u32_e32 v20, 0xfffffc10, v20
	v_cndmask_b32_e32 v6, v15, v6, vcc_lo
	v_cmp_ne_u32_e32 vcc_lo, 0, v13
	v_lshrrev_b32_e32 v15, 8, v14
	v_fmac_f16_e32 v24, v232, v7
	v_lshrrev_b32_e32 v14, 16, v14
	v_and_b32_e32 v21, 7, v6
	v_cndmask_b32_e64 v13, 0, 1, vcc_lo
	v_cmp_gt_i32_e32 vcc_lo, 31, v19
	v_cmp_eq_u32_e64 s0, 3, v21
	v_and_or_b32 v13, 0xffe, v15, v13
	v_cndmask_b32_e32 v4, 0x7c00, v4, vcc_lo
	v_cmp_lt_i32_e32 vcc_lo, 5, v21
	v_mul_f64 v[15:16], v[0:1], s[6:7]
	v_lshrrev_b32_e32 v1, 2, v6
	v_or_b32_e32 v25, 0x1000, v13
	v_med3_i32 v0, v23, 0, 13
	s_or_b32 vcc_lo, s0, vcc_lo
	v_cvt_f32_f16_e32 v21, v24
	v_add_co_ci_u32_e32 v23, vcc_lo, 0, v1, vcc_lo
	v_add_co_u32 v8, vcc_lo, v8, s5
	v_lshrrev_b32_e32 v6, v0, v25
	v_add_co_ci_u32_e32 v9, vcc_lo, s4, v9, vcc_lo
	v_cmp_ne_u32_e32 vcc_lo, 0, v2
	v_lshlrev_b32_e32 v24, v0, v6
	v_cvt_f64_f32_e32 v[0:1], v21
	v_lshrrev_b32_e32 v21, 16, v12
	v_cndmask_b32_e64 v2, 0, 1, vcc_lo
	v_cmp_eq_u32_e32 vcc_lo, 0x40f, v19
	global_store_dword v[8:9], v18, off
	v_and_or_b32 v15, 0x1ff, v16, v15
	v_lshl_or_b32 v2, v2, 9, 0x7c00
	v_cndmask_b32_e32 v4, v4, v11, vcc_lo
	v_cmp_gt_i32_e32 vcc_lo, 31, v17
	v_cndmask_b32_e32 v11, 0x7c00, v23, vcc_lo
	v_cmp_ne_u32_e32 vcc_lo, v24, v25
	v_cndmask_b32_e64 v19, 0, 1, vcc_lo
	v_cmp_eq_u32_e32 vcc_lo, 0x40f, v17
	v_lshrrev_b32_e32 v17, 8, v16
	v_or_b32_e32 v6, v6, v19
	v_cndmask_b32_e32 v2, v11, v2, vcc_lo
	v_mul_f64 v[11:12], v[0:1], s[6:7]
	v_cmp_ne_u32_e32 vcc_lo, 0, v15
	v_bfe_u32 v19, v16, 20, 11
	v_lshl_or_b32 v0, v20, 12, v13
	v_lshrrev_b32_e32 v1, 16, v3
	v_and_or_b32 v3, 0x8000, v21, v4
	v_cndmask_b32_e64 v15, 0, 1, vcc_lo
	v_cmp_gt_i32_e32 vcc_lo, 1, v20
	v_sub_nc_u32_e32 v4, 0x3f1, v19
	v_lshrrev_b32_e32 v16, 16, v16
	v_and_b32_e32 v3, 0xffff, v3
	v_and_or_b32 v15, 0xffe, v17, v15
	v_cndmask_b32_e32 v6, v0, v6, vcc_lo
	v_and_or_b32 v0, 0x8000, v1, v2
	v_mul_f16_sdwa v2, v232, v7 dst_sel:DWORD dst_unused:UNUSED_PAD src0_sel:WORD_1 src1_sel:DWORD
	v_med3_i32 v1, v4, 0, 13
	v_or_b32_e32 v17, 0x1000, v15
	v_and_b32_e32 v4, 7, v6
	v_lshrrev_b32_e32 v6, 2, v6
	v_fma_f16 v18, v232, v22, -v2
	v_lshl_or_b32 v2, v0, 16, v3
	v_lshrrev_b32_e32 v7, v1, v17
	v_and_or_b32 v11, 0x1ff, v12, v11
	v_add_co_u32 v0, s1, v8, s5
	v_cvt_f32_f16_e32 v3, v18
	v_lshlrev_b32_e32 v21, v1, v7
	v_add_co_ci_u32_e64 v1, s1, s4, v9, s1
	v_cmp_ne_u32_e64 s1, 0, v11
	v_cmp_lt_i32_e32 vcc_lo, 5, v4
	v_cmp_eq_u32_e64 s0, 3, v4
	v_cvt_f64_f32_e32 v[3:4], v3
	v_lshrrev_b32_e32 v9, 8, v12
	v_cndmask_b32_e64 v8, 0, 1, s1
	v_cmp_ne_u32_e64 s1, v21, v17
	v_bfe_u32 v11, v12, 20, 11
	v_add_nc_u32_e32 v18, 0xfffffc10, v19
	s_or_b32 vcc_lo, s0, vcc_lo
	v_and_or_b32 v8, 0xffe, v9, v8
	v_cndmask_b32_e64 v17, 0, 1, s1
	v_add_co_ci_u32_e32 v6, vcc_lo, 0, v6, vcc_lo
	v_sub_nc_u32_e32 v9, 0x3f1, v11
	v_cmp_gt_i32_e32 vcc_lo, 1, v18
	v_or_b32_e32 v7, v7, v17
	v_lshl_or_b32 v17, v18, 12, v15
	v_or_b32_e32 v19, 0x1000, v8
	v_med3_i32 v9, v9, 0, 13
	v_cmp_eq_u32_e64 s1, 0x40f, v20
	v_add_nc_u32_e32 v11, 0xfffffc10, v11
	v_cndmask_b32_e32 v7, v17, v7, vcc_lo
	v_cmp_ne_u32_e32 vcc_lo, 0, v13
	v_lshrrev_b32_e32 v17, v9, v19
	v_mul_f64 v[3:4], v[3:4], s[6:7]
	v_lshrrev_b32_e32 v21, 16, v5
	v_and_b32_e32 v23, 7, v7
	v_cndmask_b32_e64 v13, 0, 1, vcc_lo
	v_cmp_gt_i32_e32 vcc_lo, 31, v20
	v_lshlrev_b32_e32 v9, v9, v17
	v_lshrrev_b32_e32 v20, 2, v7
	v_cmp_eq_u32_e64 s0, 3, v23
	v_lshl_or_b32 v13, v13, 9, 0x7c00
	v_cndmask_b32_e32 v6, 0x7c00, v6, vcc_lo
	v_cmp_lt_i32_e32 vcc_lo, 5, v23
	v_mul_f16_sdwa v22, v231, v21 dst_sel:DWORD dst_unused:UNUSED_PAD src0_sel:WORD_1 src1_sel:DWORD
	v_cndmask_b32_e64 v13, v6, v13, s1
	v_cmp_ne_u32_e64 s1, v9, v19
	s_or_b32 vcc_lo, s0, vcc_lo
	v_fmac_f16_e32 v22, v231, v5
	v_add_co_ci_u32_e32 v19, vcc_lo, 0, v20, vcc_lo
	v_cndmask_b32_e64 v9, 0, 1, s1
	v_cmp_ne_u32_e32 vcc_lo, 0, v15
	v_and_or_b32 v3, 0x1ff, v4, v3
	v_cvt_f32_f16_e32 v6, v22
	v_bfe_u32 v20, v4, 20, 11
	v_or_b32_e32 v9, v17, v9
	v_lshl_or_b32 v17, v11, 12, v8
	v_cndmask_b32_e64 v15, 0, 1, vcc_lo
	v_cmp_gt_i32_e32 vcc_lo, 1, v11
	v_cvt_f64_f32_e32 v[6:7], v6
	v_and_or_b32 v13, 0x8000, v14, v13
	v_mul_f16_sdwa v5, v231, v5 dst_sel:DWORD dst_unused:UNUSED_PAD src0_sel:WORD_1 src1_sel:DWORD
	v_lshl_or_b32 v15, v15, 9, 0x7c00
	v_cndmask_b32_e32 v9, v17, v9, vcc_lo
	v_cmp_ne_u32_e32 vcc_lo, 0, v3
	v_lshrrev_b32_e32 v17, 8, v4
	v_and_b32_e32 v13, 0xffff, v13
	v_fma_f16 v5, v231, v21, -v5
	v_and_b32_e32 v22, 7, v9
	v_cndmask_b32_e64 v3, 0, 1, vcc_lo
	v_cmp_gt_i32_e32 vcc_lo, 31, v18
	v_lshrrev_b32_e32 v9, 2, v9
	v_cvt_f32_f16_e32 v5, v5
	v_cmp_eq_u32_e64 s0, 3, v22
	v_and_or_b32 v3, 0xffe, v17, v3
	v_cndmask_b32_e32 v19, 0x7c00, v19, vcc_lo
	v_cmp_eq_u32_e32 vcc_lo, 0x40f, v18
	v_sub_nc_u32_e32 v17, 0x3f1, v20
	v_or_b32_e32 v18, 0x1000, v3
	v_cndmask_b32_e32 v15, v19, v15, vcc_lo
	v_cmp_lt_i32_e32 vcc_lo, 5, v22
	buffer_load_dword v22, off, s[20:23], 0 ; 4-byte Folded Reload
	v_mul_f64 v[6:7], v[6:7], s[6:7]
	v_med3_i32 v17, v17, 0, 13
	v_and_or_b32 v15, 0x8000, v16, v15
	s_or_b32 vcc_lo, s0, vcc_lo
	v_add_co_ci_u32_e32 v9, vcc_lo, 0, v9, vcc_lo
	v_lshrrev_b32_e32 v14, v17, v18
	v_cmp_ne_u32_e32 vcc_lo, 0, v8
	v_lshl_or_b32 v15, v15, 16, v13
	v_lshlrev_b32_e32 v16, v17, v14
	v_cndmask_b32_e64 v8, 0, 1, vcc_lo
	v_add_nc_u32_e32 v17, 0xfffffc10, v20
	v_cmp_ne_u32_e32 vcc_lo, v16, v18
	v_lshrrev_b32_e32 v18, 16, v10
	v_lshl_or_b32 v8, v8, 9, 0x7c00
	v_and_or_b32 v13, 0x1ff, v7, v6
	v_cndmask_b32_e64 v16, 0, 1, vcc_lo
	v_cmp_gt_i32_e32 vcc_lo, 31, v11
	v_lshrrev_b32_e32 v19, 8, v7
	v_bfe_u32 v20, v7, 20, 11
	v_cvt_f64_f32_e32 v[5:6], v5
	v_or_b32_e32 v14, v14, v16
	v_cndmask_b32_e32 v9, 0x7c00, v9, vcc_lo
	v_cmp_ne_u32_e32 vcc_lo, 0, v13
	v_lshl_or_b32 v16, v17, 12, v3
	v_lshrrev_b32_e32 v7, 16, v7
	v_cndmask_b32_e64 v13, 0, 1, vcc_lo
	v_cmp_gt_i32_e32 vcc_lo, 1, v17
	v_and_or_b32 v19, 0xffe, v19, v13
	v_sub_nc_u32_e32 v13, 0x3f1, v20
	v_cndmask_b32_e32 v14, v16, v14, vcc_lo
	v_cmp_eq_u32_e32 vcc_lo, 0x40f, v11
	v_or_b32_e32 v16, 0x1000, v19
	v_med3_i32 v13, v13, 0, 13
	v_cndmask_b32_e32 v23, v9, v8, vcc_lo
	v_mul_f64 v[5:6], v[5:6], s[6:7]
	v_lshrrev_b32_e32 v11, v13, v16
	v_lshlrev_b32_e32 v13, v13, v11
	v_and_or_b32 v5, 0x1ff, v6, v5
	s_waitcnt vmcnt(0)
	v_mul_f16_sdwa v21, v22, v18 dst_sel:DWORD dst_unused:UNUSED_PAD src0_sel:WORD_1 src1_sel:DWORD
	v_mov_b32_e32 v24, v22
	v_fmac_f16_e32 v21, v22, v10
	v_and_b32_e32 v22, 7, v14
	v_mul_f16_sdwa v10, v24, v10 dst_sel:DWORD dst_unused:UNUSED_PAD src0_sel:WORD_1 src1_sel:DWORD
	v_cvt_f32_f16_e32 v21, v21
	v_cmp_lt_i32_e32 vcc_lo, 5, v22
	v_cmp_eq_u32_e64 s0, 3, v22
	v_fma_f16 v10, v24, v18, -v10
	v_cvt_f64_f32_e32 v[8:9], v21
	v_lshrrev_b32_e32 v21, 16, v12
	v_lshrrev_b32_e32 v12, 2, v14
	s_or_b32 vcc_lo, s0, vcc_lo
	v_add_nc_u32_e32 v14, 0xfffffc10, v20
	v_cvt_f32_f16_e32 v10, v10
	v_and_or_b32 v21, 0x8000, v21, v23
	v_add_co_ci_u32_e32 v12, vcc_lo, 0, v12, vcc_lo
	v_cmp_ne_u32_e32 vcc_lo, v13, v16
	v_lshl_or_b32 v18, v14, 12, v19
	v_cndmask_b32_e64 v13, 0, 1, vcc_lo
	v_cmp_ne_u32_e32 vcc_lo, 0, v3
	v_or_b32_e32 v16, v11, v13
	v_cndmask_b32_e64 v3, 0, 1, vcc_lo
	v_cmp_gt_i32_e32 vcc_lo, 31, v17
	v_cvt_f64_f32_e32 v[10:11], v10
	v_mul_f64 v[8:9], v[8:9], s[6:7]
	v_lshl_or_b32 v3, v3, 9, 0x7c00
	v_cndmask_b32_e32 v20, 0x7c00, v12, vcc_lo
	v_add_co_u32 v12, vcc_lo, v0, s5
	v_add_co_ci_u32_e32 v13, vcc_lo, s4, v1, vcc_lo
	v_cmp_gt_i32_e32 vcc_lo, 1, v14
	v_cndmask_b32_e32 v16, v18, v16, vcc_lo
	v_cmp_eq_u32_e32 vcc_lo, 0x40f, v17
	v_bfe_u32 v18, v6, 20, 11
	v_and_b32_e32 v22, 7, v16
	v_cndmask_b32_e32 v17, v20, v3, vcc_lo
	v_cmp_ne_u32_e32 vcc_lo, 0, v5
	v_lshrrev_b32_e32 v5, 8, v6
	v_lshrrev_b32_e32 v20, 16, v4
	v_sub_nc_u32_e32 v23, 0x3f1, v18
	v_cmp_eq_u32_e64 s0, 3, v22
	v_cndmask_b32_e64 v3, 0, 1, vcc_lo
	v_cmp_lt_i32_e32 vcc_lo, 5, v22
	v_lshrrev_b32_e32 v16, 2, v16
	v_and_or_b32 v8, 0x1ff, v9, v8
	v_lshrrev_b32_e32 v22, 8, v9
	v_and_or_b32 v5, 0xffe, v5, v3
	v_mul_f64 v[3:4], v[10:11], s[6:7]
	v_and_or_b32 v10, 0x8000, v20, v17
	v_med3_i32 v17, v23, 0, 13
	s_or_b32 vcc_lo, s0, vcc_lo
	v_or_b32_e32 v11, 0x1000, v5
	v_add_co_ci_u32_e32 v16, vcc_lo, 0, v16, vcc_lo
	v_and_b32_e32 v20, 0xffff, v21
	v_cmp_ne_u32_e32 vcc_lo, 0, v8
	v_lshrrev_b32_e32 v21, v17, v11
	v_bfe_u32 v23, v9, 20, 11
	v_lshrrev_b32_e32 v6, 16, v6
	v_lshrrev_b32_e32 v9, 16, v9
	v_cndmask_b32_e64 v8, 0, 1, vcc_lo
	v_lshlrev_b32_e32 v17, v17, v21
	v_cmp_ne_u32_e32 vcc_lo, 0, v19
	v_lshl_or_b32 v10, v10, 16, v20
	v_and_or_b32 v8, 0xffe, v22, v8
	v_sub_nc_u32_e32 v22, 0x3f1, v23
	v_cndmask_b32_e64 v19, 0, 1, vcc_lo
	v_cmp_ne_u32_e32 vcc_lo, v17, v11
	v_and_or_b32 v3, 0x1ff, v4, v3
	v_add_nc_u32_e32 v17, 0xfffffc10, v18
	v_or_b32_e32 v18, 0x1000, v8
	v_med3_i32 v22, v22, 0, 13
	v_cndmask_b32_e64 v11, 0, 1, vcc_lo
	v_cmp_gt_i32_e32 vcc_lo, 31, v14
	v_lshrrev_b32_e32 v24, 8, v4
	v_bfe_u32 v25, v4, 20, 11
	v_lshrrev_b32_e32 v26, v22, v18
	v_or_b32_e32 v11, v21, v11
	v_cndmask_b32_e32 v16, 0x7c00, v16, vcc_lo
	v_cmp_ne_u32_e32 vcc_lo, 0, v3
	v_lshl_or_b32 v21, v17, 12, v5
	v_lshl_or_b32 v19, v19, 9, 0x7c00
	v_cndmask_b32_e64 v3, 0, 1, vcc_lo
	v_cmp_gt_i32_e32 vcc_lo, 1, v17
	v_and_or_b32 v3, 0xffe, v24, v3
	v_sub_nc_u32_e32 v24, 0x3f1, v25
	v_cndmask_b32_e32 v11, v21, v11, vcc_lo
	v_lshlrev_b32_e32 v21, v22, v26
	v_cmp_eq_u32_e32 vcc_lo, 0x40f, v14
	v_or_b32_e32 v22, 0x1000, v3
	v_med3_i32 v24, v24, 0, 13
	v_and_b32_e32 v27, 7, v11
	v_lshrrev_b32_e32 v11, 2, v11
	v_cndmask_b32_e32 v14, v16, v19, vcc_lo
	v_cmp_ne_u32_e32 vcc_lo, v21, v18
	v_add_nc_u32_e32 v18, 0xfffffc10, v23
	v_lshrrev_b32_e32 v19, v24, v22
	v_cmp_eq_u32_e64 s0, 3, v27
	v_and_or_b32 v7, 0x8000, v7, v14
	v_cndmask_b32_e64 v16, 0, 1, vcc_lo
	v_lshl_or_b32 v21, v18, 12, v8
	v_lshlrev_b32_e32 v23, v24, v19
	v_cmp_gt_i32_e64 s1, 1, v18
	v_cmp_lt_i32_e32 vcc_lo, 5, v27
	v_or_b32_e32 v16, v26, v16
	s_or_b32 vcc_lo, s0, vcc_lo
	v_cndmask_b32_e64 v16, v21, v16, s1
	v_cmp_ne_u32_e64 s1, v23, v22
	v_add_nc_u32_e32 v22, 0xfffffc10, v25
	v_add_co_ci_u32_e32 v11, vcc_lo, 0, v11, vcc_lo
	v_and_b32_e32 v23, 7, v16
	v_cndmask_b32_e64 v21, 0, 1, s1
	v_cmp_ne_u32_e32 vcc_lo, 0, v5
	v_cmp_gt_i32_e64 s0, 1, v22
	v_lshrrev_b32_e32 v16, 2, v16
	v_cmp_gt_i32_e64 s1, 31, v17
	v_or_b32_e32 v19, v19, v21
	v_lshl_or_b32 v21, v22, 12, v3
	v_cndmask_b32_e64 v5, 0, 1, vcc_lo
	v_cmp_lt_i32_e32 vcc_lo, 5, v23
	v_cndmask_b32_e64 v11, 0x7c00, v11, s1
	v_cmp_eq_u32_e64 s1, 0x40f, v17
	v_cndmask_b32_e64 v14, v21, v19, s0
	v_cmp_eq_u32_e64 s0, 3, v23
	v_lshl_or_b32 v5, v5, 9, 0x7c00
	v_and_b32_e32 v19, 7, v14
	s_or_b32 vcc_lo, s0, vcc_lo
	v_cndmask_b32_e64 v5, v11, v5, s1
	v_add_co_ci_u32_e32 v16, vcc_lo, 0, v16, vcc_lo
	v_cmp_ne_u32_e32 vcc_lo, 0, v8
	v_cmp_eq_u32_e64 s0, 3, v19
	v_lshrrev_b32_e32 v11, 2, v14
	v_cmp_gt_i32_e64 s1, 31, v18
	v_and_or_b32 v5, 0x8000, v6, v5
	v_cndmask_b32_e64 v8, 0, 1, vcc_lo
	v_cmp_lt_i32_e32 vcc_lo, 5, v19
	v_and_b32_e32 v6, 0xffff, v7
	v_cndmask_b32_e64 v14, 0x7c00, v16, s1
	v_lshl_or_b32 v8, v8, 9, 0x7c00
	s_or_b32 vcc_lo, s0, vcc_lo
	v_add_co_ci_u32_e32 v11, vcc_lo, 0, v11, vcc_lo
	v_cmp_ne_u32_e32 vcc_lo, 0, v3
	v_cndmask_b32_e64 v3, 0, 1, vcc_lo
	v_cmp_eq_u32_e32 vcc_lo, 0x40f, v18
	v_lshl_or_b32 v3, v3, 9, 0x7c00
	v_cndmask_b32_e32 v8, v14, v8, vcc_lo
	v_cmp_gt_i32_e32 vcc_lo, 31, v22
	v_and_or_b32 v7, 0x8000, v9, v8
	v_cndmask_b32_e32 v11, 0x7c00, v11, vcc_lo
	v_cmp_eq_u32_e32 vcc_lo, 0x40f, v22
	v_lshrrev_b32_e32 v9, 16, v4
	v_and_b32_e32 v7, 0xffff, v7
	v_cndmask_b32_e32 v8, v11, v3, vcc_lo
	v_add_co_u32 v3, vcc_lo, v12, s5
	v_add_co_ci_u32_e32 v4, vcc_lo, s4, v13, vcc_lo
	v_lshl_or_b32 v11, v5, 16, v6
	v_and_or_b32 v8, 0x8000, v9, v8
	v_add_co_u32 v5, vcc_lo, v3, s5
	v_add_co_ci_u32_e32 v6, vcc_lo, s4, v4, vcc_lo
	v_lshl_or_b32 v9, v8, 16, v7
	v_add_co_u32 v7, vcc_lo, v5, s5
	v_add_co_ci_u32_e32 v8, vcc_lo, s4, v6, vcc_lo
	global_store_dword v[0:1], v2, off
	global_store_dword v[12:13], v15, off
	;; [unrolled: 1-line block ×5, first 2 shown]
.LBB0_2:
	s_endpgm
	.section	.rodata,"a",@progbits
	.p2align	6, 0x0
	.amdhsa_kernel bluestein_single_fwd_len3840_dim1_half_op_CI_CI
		.amdhsa_group_segment_fixed_size 15360
		.amdhsa_private_segment_fixed_size 68
		.amdhsa_kernarg_size 104
		.amdhsa_user_sgpr_count 6
		.amdhsa_user_sgpr_private_segment_buffer 1
		.amdhsa_user_sgpr_dispatch_ptr 0
		.amdhsa_user_sgpr_queue_ptr 0
		.amdhsa_user_sgpr_kernarg_segment_ptr 1
		.amdhsa_user_sgpr_dispatch_id 0
		.amdhsa_user_sgpr_flat_scratch_init 0
		.amdhsa_user_sgpr_private_segment_size 0
		.amdhsa_wavefront_size32 1
		.amdhsa_uses_dynamic_stack 0
		.amdhsa_system_sgpr_private_segment_wavefront_offset 1
		.amdhsa_system_sgpr_workgroup_id_x 1
		.amdhsa_system_sgpr_workgroup_id_y 0
		.amdhsa_system_sgpr_workgroup_id_z 0
		.amdhsa_system_sgpr_workgroup_info 0
		.amdhsa_system_vgpr_workitem_id 0
		.amdhsa_next_free_vgpr 256
		.amdhsa_next_free_sgpr 24
		.amdhsa_reserve_vcc 1
		.amdhsa_reserve_flat_scratch 0
		.amdhsa_float_round_mode_32 0
		.amdhsa_float_round_mode_16_64 0
		.amdhsa_float_denorm_mode_32 3
		.amdhsa_float_denorm_mode_16_64 3
		.amdhsa_dx10_clamp 1
		.amdhsa_ieee_mode 1
		.amdhsa_fp16_overflow 0
		.amdhsa_workgroup_processor_mode 1
		.amdhsa_memory_ordered 1
		.amdhsa_forward_progress 0
		.amdhsa_shared_vgpr_count 0
		.amdhsa_exception_fp_ieee_invalid_op 0
		.amdhsa_exception_fp_denorm_src 0
		.amdhsa_exception_fp_ieee_div_zero 0
		.amdhsa_exception_fp_ieee_overflow 0
		.amdhsa_exception_fp_ieee_underflow 0
		.amdhsa_exception_fp_ieee_inexact 0
		.amdhsa_exception_int_div_zero 0
	.end_amdhsa_kernel
	.text
.Lfunc_end0:
	.size	bluestein_single_fwd_len3840_dim1_half_op_CI_CI, .Lfunc_end0-bluestein_single_fwd_len3840_dim1_half_op_CI_CI
                                        ; -- End function
	.section	.AMDGPU.csdata,"",@progbits
; Kernel info:
; codeLenInByte = 55000
; NumSgprs: 26
; NumVgprs: 256
; ScratchSize: 68
; MemoryBound: 0
; FloatMode: 240
; IeeeMode: 1
; LDSByteSize: 15360 bytes/workgroup (compile time only)
; SGPRBlocks: 3
; VGPRBlocks: 31
; NumSGPRsForWavesPerEU: 26
; NumVGPRsForWavesPerEU: 256
; Occupancy: 4
; WaveLimiterHint : 1
; COMPUTE_PGM_RSRC2:SCRATCH_EN: 1
; COMPUTE_PGM_RSRC2:USER_SGPR: 6
; COMPUTE_PGM_RSRC2:TRAP_HANDLER: 0
; COMPUTE_PGM_RSRC2:TGID_X_EN: 1
; COMPUTE_PGM_RSRC2:TGID_Y_EN: 0
; COMPUTE_PGM_RSRC2:TGID_Z_EN: 0
; COMPUTE_PGM_RSRC2:TIDIG_COMP_CNT: 0
	.text
	.p2alignl 6, 3214868480
	.fill 48, 4, 3214868480
	.type	__hip_cuid_909db7f6769f239e,@object ; @__hip_cuid_909db7f6769f239e
	.section	.bss,"aw",@nobits
	.globl	__hip_cuid_909db7f6769f239e
__hip_cuid_909db7f6769f239e:
	.byte	0                               ; 0x0
	.size	__hip_cuid_909db7f6769f239e, 1

	.ident	"AMD clang version 19.0.0git (https://github.com/RadeonOpenCompute/llvm-project roc-6.4.0 25133 c7fe45cf4b819c5991fe208aaa96edf142730f1d)"
	.section	".note.GNU-stack","",@progbits
	.addrsig
	.addrsig_sym __hip_cuid_909db7f6769f239e
	.amdgpu_metadata
---
amdhsa.kernels:
  - .args:
      - .actual_access:  read_only
        .address_space:  global
        .offset:         0
        .size:           8
        .value_kind:     global_buffer
      - .actual_access:  read_only
        .address_space:  global
        .offset:         8
        .size:           8
        .value_kind:     global_buffer
      - .actual_access:  read_only
        .address_space:  global
        .offset:         16
        .size:           8
        .value_kind:     global_buffer
      - .actual_access:  read_only
        .address_space:  global
        .offset:         24
        .size:           8
        .value_kind:     global_buffer
      - .actual_access:  read_only
        .address_space:  global
        .offset:         32
        .size:           8
        .value_kind:     global_buffer
      - .offset:         40
        .size:           8
        .value_kind:     by_value
      - .address_space:  global
        .offset:         48
        .size:           8
        .value_kind:     global_buffer
      - .address_space:  global
        .offset:         56
        .size:           8
        .value_kind:     global_buffer
      - .address_space:  global
        .offset:         64
        .size:           8
        .value_kind:     global_buffer
      - .address_space:  global
        .offset:         72
        .size:           8
        .value_kind:     global_buffer
      - .offset:         80
        .size:           4
        .value_kind:     by_value
      - .address_space:  global
        .offset:         88
        .size:           8
        .value_kind:     global_buffer
      - .address_space:  global
        .offset:         96
        .size:           8
        .value_kind:     global_buffer
    .group_segment_fixed_size: 15360
    .kernarg_segment_align: 8
    .kernarg_segment_size: 104
    .language:       OpenCL C
    .language_version:
      - 2
      - 0
    .max_flat_workgroup_size: 128
    .name:           bluestein_single_fwd_len3840_dim1_half_op_CI_CI
    .private_segment_fixed_size: 68
    .sgpr_count:     26
    .sgpr_spill_count: 0
    .symbol:         bluestein_single_fwd_len3840_dim1_half_op_CI_CI.kd
    .uniform_work_group_size: 1
    .uses_dynamic_stack: false
    .vgpr_count:     256
    .vgpr_spill_count: 16
    .wavefront_size: 32
    .workgroup_processor_mode: 1
amdhsa.target:   amdgcn-amd-amdhsa--gfx1030
amdhsa.version:
  - 1
  - 2
...

	.end_amdgpu_metadata
